;; amdgpu-corpus repo=zjin-lcf/HeCBench kind=compiled arch=gfx1250 opt=O3
	.amdgcn_target "amdgcn-amd-amdhsa--gfx1250"
	.amdhsa_code_object_version 6
	.section	.text._Z46moe_align_block_size_small_batch_expert_kernelIiLi256EEvPKT_PiS3_S3_S3_iiiii,"axG",@progbits,_Z46moe_align_block_size_small_batch_expert_kernelIiLi256EEvPKT_PiS3_S3_S3_iiiii,comdat
	.protected	_Z46moe_align_block_size_small_batch_expert_kernelIiLi256EEvPKT_PiS3_S3_S3_iiiii ; -- Begin function _Z46moe_align_block_size_small_batch_expert_kernelIiLi256EEvPKT_PiS3_S3_S3_iiiii
	.globl	_Z46moe_align_block_size_small_batch_expert_kernelIiLi256EEvPKT_PiS3_S3_S3_iiiii
	.p2align	8
	.type	_Z46moe_align_block_size_small_batch_expert_kernelIiLi256EEvPKT_PiS3_S3_S3_iiiii,@function
_Z46moe_align_block_size_small_batch_expert_kernelIiLi256EEvPKT_PiS3_S3_S3_iiiii: ; @_Z46moe_align_block_size_small_batch_expert_kernelIiLi256EEvPKT_PiS3_S3_S3_iiiii
; %bb.0:
	s_clause 0x1
	s_load_b128 s[4:7], s[0:1], 0x28
	s_load_b64 s[12:13], s[0:1], 0x8
	s_wait_kmcnt 0x0
	s_abs_i32 s28, s5
	s_delay_alu instid0(SALU_CYCLE_1) | instskip(NEXT) | instid1(SALU_CYCLE_3)
	s_cvt_f32_u32 s2, s28
	v_rcp_iflag_f32_e32 v1, s2
	s_mov_b32 s2, exec_lo
	v_nop
	s_delay_alu instid0(TRANS32_DEP_1)
	v_readfirstlane_b32 s3, v1
	v_cmpx_lt_u32_e32 0xff, v0
	s_xor_b32 s24, exec_lo, s2
	s_cbranch_execz .LBB0_71
; %bb.1:
	s_clause 0x1
	s_load_b64 s[14:15], s[0:1], 0x20
	s_load_b32 s2, s[0:1], 0x4c
	s_mul_f32 s3, s3, 0x4f7ffffe
	s_sub_co_i32 s8, 0, s28
	s_add_co_i32 s31, s5, -1
	s_mov_b32 s21, 0
	s_cvt_u32_f32 s3, s3
	s_add_co_i32 s22, s31, s7
	s_delay_alu instid0(SALU_CYCLE_1) | instskip(NEXT) | instid1(SALU_CYCLE_1)
	s_abs_i32 s20, s22
	s_mul_i32 s8, s8, s3
	s_delay_alu instid0(SALU_CYCLE_1) | instskip(NEXT) | instid1(SALU_CYCLE_1)
	s_mul_hi_u32 s8, s3, s8
	s_add_co_i32 s18, s3, s8
	s_cmp_lt_i32 s4, 1
	s_cbranch_scc1 .LBB0_11
; %bb.2:
	v_lshl_add_u32 v2, v0, 2, 0xfffffc08
	s_cmp_lg_u32 s4, 1
	s_cbranch_scc0 .LBB0_6
; %bb.3:
	s_delay_alu instid0(VALU_DEP_1) | instskip(SKIP_2) | instid1(SALU_CYCLE_1)
	v_mul_lo_u32 v1, s4, v2
	v_mov_b32_e32 v4, 0
	s_and_b32 s3, s4, 0x7ffffffe
	s_mov_b32 s8, s3
	s_delay_alu instid0(VALU_DEP_2)
	v_add3_u32 v3, v1, 0, 4
.LBB0_4:                                ; =>This Inner Loop Header: Depth=1
	ds_store_2addr_b32 v3, v4, v4 offset1:1
	v_add_nc_u32_e32 v3, 8, v3
	s_add_co_i32 s8, s8, -2
	s_delay_alu instid0(SALU_CYCLE_1)
	s_cmp_lg_u32 s8, 0
	s_cbranch_scc1 .LBB0_4
; %bb.5:
	s_cmp_lg_u32 s4, s3
	s_cselect_b32 s8, -1, 0
	s_branch .LBB0_8
.LBB0_6:
	s_mov_b32 s8, 0
                                        ; implicit-def: $sgpr3
                                        ; implicit-def: $vgpr1
	s_cbranch_execz .LBB0_8
; %bb.7:
	v_mul_lo_u32 v1, s4, v2
	s_mov_b32 s8, -1
	s_mov_b32 s3, 0
.LBB0_8:
	s_and_not1_b32 vcc_lo, exec_lo, s8
	s_cbranch_vccnz .LBB0_11
; %bb.9:
	s_lshl_b32 s8, s3, 2
	v_mov_b32_e32 v2, 0
	s_add_co_i32 s8, s8, 0
	s_sub_co_i32 s3, s4, s3
	s_delay_alu instid0(VALU_DEP_2)
	v_add3_u32 v1, s8, v1, 4
.LBB0_10:                               ; =>This Inner Loop Header: Depth=1
	ds_store_b32 v1, v2
	v_add_nc_u32_e32 v1, 4, v1
	s_add_co_i32 s3, s3, -1
	s_delay_alu instid0(SALU_CYCLE_1)
	s_cmp_eq_u32 s3, 0
	s_cbranch_scc0 .LBB0_10
.LBB0_11:
	s_clause 0x1
	s_load_b128 s[8:11], s[0:1], 0x10
	s_load_b64 s[16:17], s[0:1], 0x0
	v_add_nc_u32_e32 v10, 0xffffff00, v0
	v_lshlrev_b32_e32 v2, 2, v0
	s_wait_kmcnt 0x0
	s_and_b32 s26, 0xffff, s2
	s_lshl_b32 s23, s4, 2
	s_mov_b32 s19, s21
	v_cmp_gt_i32_e64 s0, s6, v10
	s_add_co_i32 s25, s26, 0xffffff00
	s_add_co_i32 s27, s23, 0
	s_and_saveexec_b32 s1, s0
	s_cbranch_execz .LBB0_18
; %bb.12:
	v_add_nc_u32_e32 v1, 0xffffff01, v0
	v_mov_b32_e32 v3, 0
	s_mov_b64 s[2:3], 0xfffffffffffffc00
	s_cmp_eq_u64 s[14:15], 0
	s_mov_b32 s35, s21
	v_mul_lo_u32 v1, s4, v1
	v_add_nc_u64_e32 v[4:5], s[16:17], v[2:3]
	s_cselect_b32 s29, -1, 0
	s_cmp_lg_u64 s[14:15], 0
	v_mov_b32_e32 v3, v10
	s_cselect_b32 s30, -1, 0
	s_lshl_b32 s34, s26, 2
	s_mov_b32 s33, s21
	v_add_nc_u64_e32 v[4:5], s[2:3], v[4:5]
	s_add_nc_u64 s[2:3], s[34:35], s[2:3]
	s_delay_alu instid0(VALU_DEP_4)
	v_lshl_add_u32 v1, v1, 2, s27
	s_branch .LBB0_15
.LBB0_13:                               ;   in Loop: Header=BB0_15 Depth=1
	s_wait_loadcnt 0x0
	v_lshl_add_u32 v6, v6, 2, v1
	ds_load_b32 v7, v6 offset:4
	s_wait_dscnt 0x0
	v_add_nc_u32_e32 v7, 1, v7
	ds_store_b32 v6, v7 offset:4
.LBB0_14:                               ;   in Loop: Header=BB0_15 Depth=1
	s_or_b32 exec_lo, exec_lo, s34
	v_add_nc_u32_e32 v3, s25, v3
	v_add_nc_u64_e32 v[4:5], s[2:3], v[4:5]
	s_delay_alu instid0(VALU_DEP_2) | instskip(SKIP_1) | instid1(SALU_CYCLE_1)
	v_cmp_le_i32_e32 vcc_lo, s6, v3
	s_or_b32 s33, vcc_lo, s33
	s_and_not1_b32 exec_lo, exec_lo, s33
	s_cbranch_execz .LBB0_18
.LBB0_15:                               ; =>This Inner Loop Header: Depth=1
	s_wait_loadcnt 0x0
	global_load_b32 v6, v[4:5], off
	s_and_not1_b32 vcc_lo, exec_lo, s30
	s_cbranch_vccnz .LBB0_17
; %bb.16:                               ;   in Loop: Header=BB0_15 Depth=1
	s_wait_loadcnt 0x0
	global_load_b32 v6, v6, s[14:15] scale_offset
	s_and_not1_b32 s34, s29, exec_lo
	s_wait_loadcnt 0x0
	v_cmp_ne_u32_e32 vcc_lo, -1, v6
	s_and_b32 s35, vcc_lo, exec_lo
	s_delay_alu instid0(SALU_CYCLE_1) | instskip(NEXT) | instid1(SALU_CYCLE_1)
	s_or_b32 s35, s34, s35
	s_and_saveexec_b32 s34, s35
	s_cbranch_execz .LBB0_14
	s_branch .LBB0_13
.LBB0_17:                               ;   in Loop: Header=BB0_15 Depth=1
	s_mov_b32 s35, s29
	s_wait_xcnt 0x0
	s_and_saveexec_b32 s34, s35
	s_cbranch_execz .LBB0_14
	s_branch .LBB0_13
.LBB0_18:
	s_or_b32 exec_lo, exec_lo, s1
	v_cmp_gt_i32_e64 s1, s4, v10
	s_ashr_i32 s30, s22, 31
	s_ashr_i32 s29, s5, 31
	s_mul_u64 s[2:3], s[20:21], s[18:19]
	s_wait_loadcnt_dscnt 0x0
	s_barrier_signal -1
	s_barrier_wait -1
	s_and_saveexec_b32 s21, s1
	s_cbranch_execz .LBB0_26
; %bb.19:
	v_lshl_add_u32 v1, v10, 2, s27
	v_mov_b32_e32 v3, 0
	s_cmp_lt_u32 s26, 0x101
	ds_store_b32 v1, v3 offset:4
	s_cbranch_scc1 .LBB0_26
; %bb.20:
	s_cmp_eq_u32 s4, 1
	s_cselect_b32 s22, -1, 0
	s_add_co_i32 s2, s26, 0xfffffeff
	s_delay_alu instid0(SALU_CYCLE_1) | instskip(SKIP_2) | instid1(VALU_DEP_1)
	s_lshl_b32 s33, s2, 2
	v_add_nc_u32_e32 v1, 0, v2
	s_cmp_lt_u32 s2, 2.0
	v_add_nc_u32_e32 v3, 0xfffffc0c, v1
	s_delay_alu instid0(VALU_DEP_1) | instskip(SKIP_1) | instid1(VALU_DEP_2)
	v_add_nc_u32_e32 v4, s33, v3
	v_add_nc_u32_e32 v1, 0xfffffc08, v1
	v_cmp_ge_u32_e32 vcc_lo, v4, v3
	s_delay_alu instid0(VALU_DEP_2) | instskip(SKIP_1) | instid1(SALU_CYCLE_1)
	v_add_nc_u32_e32 v5, s33, v1
	s_cselect_b32 s33, -1, 0
	s_and_b32 s33, vcc_lo, s33
	s_delay_alu instid0(VALU_DEP_1) | instskip(SKIP_1) | instid1(SALU_CYCLE_1)
	v_cmp_ge_u32_e64 s2, v5, v1
	s_and_b32 s22, s22, s33
	s_and_b32 s2, s2, s22
	s_delay_alu instid0(SALU_CYCLE_1) | instskip(NEXT) | instid1(SALU_CYCLE_1)
	s_and_saveexec_b32 s22, s2
	s_xor_b32 s2, exec_lo, s22
	s_cbranch_execz .LBB0_23
; %bb.21:
	ds_load_b32 v1, v1
	v_add3_u32 v3, v2, 0, 0xfffffc0c
	s_mov_b32 s22, s25
.LBB0_22:                               ; =>This Inner Loop Header: Depth=1
	ds_load_b32 v4, v3
	s_add_co_i32 s22, s22, -1
	s_delay_alu instid0(SALU_CYCLE_1)
	s_cmp_lg_u32 s22, 0
	s_wait_dscnt 0x0
	v_add_nc_u32_e32 v1, v4, v1
	ds_store_b32 v3, v1
	v_add_nc_u32_e32 v3, 4, v3
	s_cbranch_scc1 .LBB0_22
.LBB0_23:
	s_and_not1_saveexec_b32 s2, s2
	s_cbranch_execz .LBB0_26
; %bb.24:
	v_add3_u32 v1, v2, 0, 0xfffffc04
	s_lshl_b32 s2, s4, 3
	s_mov_b32 s22, s25
.LBB0_25:                               ; =>This Inner Loop Header: Depth=1
	s_delay_alu instid0(VALU_DEP_1)
	v_dual_add_nc_u32 v3, s23, v1 :: v_dual_add_nc_u32 v4, s2, v1
	s_add_co_i32 s22, s22, -1
	ds_load_b32 v1, v3
	ds_load_b32 v5, v4
	s_cmp_eq_u32 s22, 0
	s_wait_dscnt 0x0
	v_dual_add_nc_u32 v5, v5, v1 :: v_dual_mov_b32 v1, v3
	ds_store_b32 v4, v5
	s_cbranch_scc0 .LBB0_25
.LBB0_26:
	s_or_b32 exec_lo, exec_lo, s21
	s_delay_alu instid0(SALU_CYCLE_1)
	s_mov_b32 s2, exec_lo
	s_wait_dscnt 0x0
	s_barrier_signal -1
	s_barrier_wait -1
	v_cmpx_eq_u32_e32 0, v10
	s_cbranch_execz .LBB0_46
; %bb.27:
	v_mov_b32_e32 v1, 0
	s_cmp_lt_i32 s4, 1
	ds_store_b32 v1, v1
	s_cbranch_scc1 .LBB0_45
; %bb.28:
	s_add_co_i32 s22, s4, -1
	s_mul_i32 s21, s25, s4
	s_lshl_b32 s23, s22, 2
	s_lshl_b32 s21, s21, 2
	s_add_co_i32 s33, s23, 0
	s_add_co_i32 s34, s27, s21
	s_add_co_i32 s35, s33, 4
	s_add_co_i32 s21, 0, 4
	s_add_co_i32 s34, s34, 4
	s_cmp_ge_u32 s35, s21
	s_cselect_b32 s35, -1, 0
	s_cmp_lt_u32 s22, 2.0
	s_cselect_b32 s22, -1, 0
	s_cmp_ge_u32 s33, 0
	s_cselect_b32 s33, -1, 0
	s_add_co_i32 s23, s34, s23
	s_and_b32 s33, s33, s35
	s_cmp_ge_u32 s23, s34
	s_cselect_b32 s23, -1, 0
	s_and_b32 s22, s33, s22
	s_mov_b32 s33, -1
	s_and_b32 s22, s23, s22
	s_delay_alu instid0(SALU_CYCLE_1)
	s_and_b32 vcc_lo, exec_lo, s22
	s_cbranch_vccz .LBB0_37
; %bb.29:
	s_cmp_lt_u32 s4, 8
	s_cbranch_scc1 .LBB0_33
; %bb.30:
	s_lshl_b32 s22, s26, 2
	s_and_b32 s33, s4, 0x7ffffff8
	s_addk_co_i32 s22, 0xfc04
	s_mov_b32 s23, 0
	s_mul_i32 s34, s4, s22
	s_mov_b32 s36, 0
	s_mov_b32 s35, 0
.LBB0_31:                               ; =>This Inner Loop Header: Depth=1
	s_add_co_i32 s22, s21, s34
	s_delay_alu instid0(SALU_CYCLE_1)
	v_mov_b32_e32 v3, s22
	ds_load_b32 v4, v3
	s_wait_dscnt 0x0
	v_readfirstlane_b32 s22, v4
	v_mov_b32_e32 v4, s21
	s_add_co_i32 s37, s31, s22
	s_delay_alu instid0(SALU_CYCLE_1) | instskip(NEXT) | instid1(SALU_CYCLE_1)
	s_abs_i32 s22, s37
	s_mul_u64 s[38:39], s[22:23], s[18:19]
	s_delay_alu instid0(SALU_CYCLE_1) | instskip(NEXT) | instid1(SALU_CYCLE_1)
	s_mul_i32 s38, s39, s28
	s_sub_co_i32 s22, s22, s38
	s_ashr_i32 s38, s37, 31
	s_sub_co_i32 s39, s22, s28
	s_cmp_ge_u32 s22, s28
	s_cselect_b32 s22, s39, s22
	s_delay_alu instid0(SALU_CYCLE_1) | instskip(SKIP_2) | instid1(SALU_CYCLE_1)
	s_sub_co_i32 s39, s22, s28
	s_cmp_ge_u32 s22, s28
	s_cselect_b32 s22, s39, s22
	s_xor_b32 s22, s22, s38
	s_delay_alu instid0(SALU_CYCLE_1) | instskip(NEXT) | instid1(SALU_CYCLE_1)
	s_sub_co_i32 s22, s38, s22
	s_add_co_i32 s22, s36, s22
	s_delay_alu instid0(SALU_CYCLE_1) | instskip(NEXT) | instid1(SALU_CYCLE_1)
	s_add_co_i32 s38, s22, s37
	v_mov_b32_e32 v5, s38
	ds_store_b32 v4, v5
	ds_load_b32 v5, v3 offset:4
	s_wait_dscnt 0x0
	v_readfirstlane_b32 s22, v5
	s_add_co_i32 s39, s31, s22
	s_delay_alu instid0(SALU_CYCLE_1) | instskip(NEXT) | instid1(SALU_CYCLE_1)
	s_abs_i32 s22, s39
	s_mul_u64 s[36:37], s[22:23], s[18:19]
	s_delay_alu instid0(SALU_CYCLE_1) | instskip(NEXT) | instid1(SALU_CYCLE_1)
	s_mul_i32 s36, s37, s28
	s_sub_co_i32 s22, s22, s36
	s_ashr_i32 s36, s39, 31
	s_sub_co_i32 s37, s22, s28
	s_cmp_ge_u32 s22, s28
	s_cselect_b32 s22, s37, s22
	s_delay_alu instid0(SALU_CYCLE_1) | instskip(SKIP_2) | instid1(SALU_CYCLE_1)
	s_sub_co_i32 s37, s22, s28
	s_cmp_ge_u32 s22, s28
	s_cselect_b32 s22, s37, s22
	s_xor_b32 s22, s22, s36
	s_delay_alu instid0(SALU_CYCLE_1) | instskip(NEXT) | instid1(SALU_CYCLE_1)
	s_sub_co_i32 s22, s36, s22
	s_add_co_i32 s22, s38, s22
	s_delay_alu instid0(SALU_CYCLE_1) | instskip(NEXT) | instid1(SALU_CYCLE_1)
	s_add_co_i32 s38, s22, s39
	v_mov_b32_e32 v5, s38
	ds_store_b32 v4, v5 offset:4
	ds_load_b32 v5, v3 offset:8
	s_wait_dscnt 0x0
	v_readfirstlane_b32 s22, v5
	s_add_co_i32 s39, s31, s22
	s_delay_alu instid0(SALU_CYCLE_1) | instskip(NEXT) | instid1(SALU_CYCLE_1)
	s_abs_i32 s22, s39
	s_mul_u64 s[36:37], s[22:23], s[18:19]
	s_delay_alu instid0(SALU_CYCLE_1) | instskip(NEXT) | instid1(SALU_CYCLE_1)
	s_mul_i32 s36, s37, s28
	s_sub_co_i32 s22, s22, s36
	s_ashr_i32 s36, s39, 31
	s_sub_co_i32 s37, s22, s28
	s_cmp_ge_u32 s22, s28
	s_cselect_b32 s22, s37, s22
	s_delay_alu instid0(SALU_CYCLE_1) | instskip(SKIP_2) | instid1(SALU_CYCLE_1)
	s_sub_co_i32 s37, s22, s28
	s_cmp_ge_u32 s22, s28
	s_cselect_b32 s22, s37, s22
	s_xor_b32 s22, s22, s36
	s_delay_alu instid0(SALU_CYCLE_1) | instskip(NEXT) | instid1(SALU_CYCLE_1)
	s_sub_co_i32 s22, s36, s22
	s_add_co_i32 s22, s38, s22
	s_delay_alu instid0(SALU_CYCLE_1) | instskip(NEXT) | instid1(SALU_CYCLE_1)
	s_add_co_i32 s38, s22, s39
	v_mov_b32_e32 v5, s38
	ds_store_b32 v4, v5 offset:8
	ds_load_b32 v5, v3 offset:12
	s_wait_dscnt 0x0
	v_readfirstlane_b32 s22, v5
	s_add_co_i32 s39, s31, s22
	s_delay_alu instid0(SALU_CYCLE_1) | instskip(NEXT) | instid1(SALU_CYCLE_1)
	s_abs_i32 s22, s39
	s_mul_u64 s[36:37], s[22:23], s[18:19]
	s_delay_alu instid0(SALU_CYCLE_1) | instskip(NEXT) | instid1(SALU_CYCLE_1)
	s_mul_i32 s36, s37, s28
	s_sub_co_i32 s22, s22, s36
	s_ashr_i32 s36, s39, 31
	s_sub_co_i32 s37, s22, s28
	s_cmp_ge_u32 s22, s28
	s_cselect_b32 s22, s37, s22
	s_delay_alu instid0(SALU_CYCLE_1) | instskip(SKIP_2) | instid1(SALU_CYCLE_1)
	s_sub_co_i32 s37, s22, s28
	s_cmp_ge_u32 s22, s28
	s_cselect_b32 s22, s37, s22
	s_xor_b32 s22, s22, s36
	s_delay_alu instid0(SALU_CYCLE_1) | instskip(NEXT) | instid1(SALU_CYCLE_1)
	s_sub_co_i32 s22, s36, s22
	s_add_co_i32 s22, s38, s22
	s_delay_alu instid0(SALU_CYCLE_1) | instskip(NEXT) | instid1(SALU_CYCLE_1)
	s_add_co_i32 s38, s22, s39
	v_mov_b32_e32 v5, s38
	ds_store_b32 v4, v5 offset:12
	ds_load_b32 v5, v3 offset:16
	s_wait_dscnt 0x0
	v_readfirstlane_b32 s22, v5
	s_add_co_i32 s39, s31, s22
	s_delay_alu instid0(SALU_CYCLE_1) | instskip(NEXT) | instid1(SALU_CYCLE_1)
	s_abs_i32 s22, s39
	s_mul_u64 s[36:37], s[22:23], s[18:19]
	s_delay_alu instid0(SALU_CYCLE_1) | instskip(NEXT) | instid1(SALU_CYCLE_1)
	s_mul_i32 s36, s37, s28
	s_sub_co_i32 s22, s22, s36
	s_ashr_i32 s36, s39, 31
	s_sub_co_i32 s37, s22, s28
	s_cmp_ge_u32 s22, s28
	s_cselect_b32 s22, s37, s22
	s_delay_alu instid0(SALU_CYCLE_1) | instskip(SKIP_2) | instid1(SALU_CYCLE_1)
	s_sub_co_i32 s37, s22, s28
	s_cmp_ge_u32 s22, s28
	s_cselect_b32 s22, s37, s22
	s_xor_b32 s22, s22, s36
	s_delay_alu instid0(SALU_CYCLE_1) | instskip(NEXT) | instid1(SALU_CYCLE_1)
	s_sub_co_i32 s22, s36, s22
	s_add_co_i32 s22, s38, s22
	s_delay_alu instid0(SALU_CYCLE_1) | instskip(NEXT) | instid1(SALU_CYCLE_1)
	s_add_co_i32 s38, s22, s39
	v_mov_b32_e32 v5, s38
	ds_store_b32 v4, v5 offset:16
	ds_load_b32 v5, v3 offset:20
	s_wait_dscnt 0x0
	v_readfirstlane_b32 s22, v5
	s_add_co_i32 s39, s31, s22
	s_delay_alu instid0(SALU_CYCLE_1) | instskip(NEXT) | instid1(SALU_CYCLE_1)
	s_abs_i32 s22, s39
	s_mul_u64 s[36:37], s[22:23], s[18:19]
	s_delay_alu instid0(SALU_CYCLE_1) | instskip(NEXT) | instid1(SALU_CYCLE_1)
	s_mul_i32 s36, s37, s28
	s_sub_co_i32 s22, s22, s36
	s_ashr_i32 s36, s39, 31
	s_sub_co_i32 s37, s22, s28
	s_cmp_ge_u32 s22, s28
	s_cselect_b32 s22, s37, s22
	s_delay_alu instid0(SALU_CYCLE_1) | instskip(SKIP_2) | instid1(SALU_CYCLE_1)
	s_sub_co_i32 s37, s22, s28
	s_cmp_ge_u32 s22, s28
	s_cselect_b32 s22, s37, s22
	s_xor_b32 s22, s22, s36
	s_delay_alu instid0(SALU_CYCLE_1) | instskip(NEXT) | instid1(SALU_CYCLE_1)
	s_sub_co_i32 s22, s36, s22
	s_add_co_i32 s22, s38, s22
	s_delay_alu instid0(SALU_CYCLE_1) | instskip(NEXT) | instid1(SALU_CYCLE_1)
	s_add_co_i32 s38, s22, s39
	v_mov_b32_e32 v5, s38
	ds_store_b32 v4, v5 offset:20
	ds_load_b32 v5, v3 offset:24
	s_wait_dscnt 0x0
	v_readfirstlane_b32 s22, v5
	s_add_co_i32 s39, s31, s22
	s_delay_alu instid0(SALU_CYCLE_1) | instskip(NEXT) | instid1(SALU_CYCLE_1)
	s_abs_i32 s22, s39
	s_mul_u64 s[36:37], s[22:23], s[18:19]
	s_delay_alu instid0(SALU_CYCLE_1) | instskip(NEXT) | instid1(SALU_CYCLE_1)
	s_mul_i32 s36, s37, s28
	s_sub_co_i32 s22, s22, s36
	s_ashr_i32 s36, s39, 31
	s_sub_co_i32 s37, s22, s28
	s_cmp_ge_u32 s22, s28
	s_cselect_b32 s22, s37, s22
	s_delay_alu instid0(SALU_CYCLE_1) | instskip(SKIP_2) | instid1(SALU_CYCLE_1)
	s_sub_co_i32 s37, s22, s28
	s_cmp_ge_u32 s22, s28
	s_cselect_b32 s22, s37, s22
	s_xor_b32 s22, s22, s36
	s_delay_alu instid0(SALU_CYCLE_1) | instskip(NEXT) | instid1(SALU_CYCLE_1)
	s_sub_co_i32 s22, s36, s22
	s_add_co_i32 s22, s38, s22
	s_delay_alu instid0(SALU_CYCLE_1) | instskip(NEXT) | instid1(SALU_CYCLE_1)
	s_add_co_i32 s38, s22, s39
	v_mov_b32_e32 v5, s38
	ds_store_b32 v4, v5 offset:24
	ds_load_b32 v3, v3 offset:28
	s_wait_dscnt 0x0
	v_readfirstlane_b32 s22, v3
	s_add_co_i32 s39, s31, s22
	s_delay_alu instid0(SALU_CYCLE_1) | instskip(NEXT) | instid1(SALU_CYCLE_1)
	s_abs_i32 s22, s39
	s_mul_u64 s[36:37], s[22:23], s[18:19]
	s_delay_alu instid0(SALU_CYCLE_1) | instskip(NEXT) | instid1(SALU_CYCLE_1)
	s_mul_i32 s36, s37, s28
	s_sub_co_i32 s22, s22, s36
	s_ashr_i32 s36, s39, 31
	s_sub_co_i32 s37, s22, s28
	s_cmp_ge_u32 s22, s28
	s_cselect_b32 s22, s37, s22
	s_delay_alu instid0(SALU_CYCLE_1) | instskip(SKIP_4) | instid1(SALU_CYCLE_1)
	s_sub_co_i32 s37, s22, s28
	s_cmp_ge_u32 s22, s28
	s_cselect_b32 s22, s37, s22
	s_add_co_i32 s21, s21, 32
	s_xor_b32 s22, s22, s36
	s_sub_co_i32 s22, s36, s22
	s_delay_alu instid0(SALU_CYCLE_1) | instskip(NEXT) | instid1(SALU_CYCLE_1)
	s_add_co_i32 s22, s38, s22
	s_add_co_i32 s36, s22, s39
	s_mov_b32 s22, s35
	v_mov_b32_e32 v3, s36
	s_add_co_i32 s35, s35, 8
	s_delay_alu instid0(SALU_CYCLE_1)
	s_cmp_eq_u32 s33, s35
	ds_store_b32 v4, v3 offset:28
	s_cbranch_scc0 .LBB0_31
; %bb.32:
	s_add_co_i32 s22, s22, 9
	s_branch .LBB0_34
.LBB0_33:
	s_mov_b32 s36, 0
	s_mov_b32 s22, 1
.LBB0_34:
	s_and_b32 s21, s4, 7
	s_mov_b32 s33, 0
	s_cmp_eq_u32 s21, 0
	s_cbranch_scc1 .LBB0_37
; %bb.35:
	s_lshl_b32 s23, s26, 2
	s_lshl_b32 s22, s22, 2
	s_add_co_i32 s34, s23, 0xfffffc04
	s_mov_b32 s23, 0
	s_mul_i32 s34, s4, s34
	s_add_co_i32 s35, s22, 0
.LBB0_36:                               ; =>This Inner Loop Header: Depth=1
	s_delay_alu instid0(SALU_CYCLE_1) | instskip(NEXT) | instid1(SALU_CYCLE_1)
	s_add_co_i32 s22, s35, s34
	v_mov_b32_e32 v3, s22
	ds_load_b32 v3, v3
	s_wait_dscnt 0x0
	v_readfirstlane_b32 s22, v3
	v_mov_b32_e32 v3, s35
	s_add_co_i32 s37, s31, s22
	s_delay_alu instid0(SALU_CYCLE_1) | instskip(NEXT) | instid1(SALU_CYCLE_1)
	s_abs_i32 s22, s37
	s_mul_u64 s[38:39], s[22:23], s[18:19]
	s_delay_alu instid0(SALU_CYCLE_1) | instskip(NEXT) | instid1(SALU_CYCLE_1)
	s_mul_i32 s38, s39, s28
	s_sub_co_i32 s22, s22, s38
	s_ashr_i32 s38, s37, 31
	s_sub_co_i32 s39, s22, s28
	s_cmp_ge_u32 s22, s28
	s_cselect_b32 s22, s39, s22
	s_delay_alu instid0(SALU_CYCLE_1)
	s_sub_co_i32 s39, s22, s28
	s_cmp_ge_u32 s22, s28
	s_cselect_b32 s22, s39, s22
	s_add_co_i32 s21, s21, -1
	s_xor_b32 s22, s22, s38
	s_add_co_i32 s35, s35, 4
	s_sub_co_i32 s22, s38, s22
	s_delay_alu instid0(SALU_CYCLE_1) | instskip(NEXT) | instid1(SALU_CYCLE_1)
	s_add_co_i32 s22, s36, s22
	s_add_co_i32 s36, s22, s37
	s_cmp_lg_u32 s21, 0
	v_mov_b32_e32 v4, s36
	ds_store_b32 v3, v4
	s_cbranch_scc1 .LBB0_36
.LBB0_37:
	s_and_b32 vcc_lo, exec_lo, s33
	s_cbranch_vccz .LBB0_45
; %bb.38:
	s_cmp_lt_u32 s4, 8
	s_mov_b32 s22, 1
	s_cbranch_scc1 .LBB0_42
; %bb.39:
	s_lshl_b32 s22, s26, 2
	s_and_b32 s21, s4, 0x7ffffff8
	s_addk_co_i32 s22, 0xfc04
	s_mov_b32 s23, 0
	s_mul_i32 s33, s4, s22
	s_mov_b32 s36, 0
	s_mov_b32 s34, 0
	;; [unrolled: 1-line block ×3, first 2 shown]
.LBB0_40:                               ; =>This Inner Loop Header: Depth=1
	s_add_co_i32 s22, s34, s33
	s_delay_alu instid0(SALU_CYCLE_1)
	v_mov_b32_e32 v3, s22
	ds_load_b32 v4, v3 offset:4
	s_wait_dscnt 0x0
	v_readfirstlane_b32 s22, v4
	v_mov_b32_e32 v4, s34
	s_add_co_i32 s37, s31, s22
	s_delay_alu instid0(SALU_CYCLE_1) | instskip(NEXT) | instid1(SALU_CYCLE_1)
	s_abs_i32 s22, s37
	s_mul_u64 s[38:39], s[22:23], s[18:19]
	s_delay_alu instid0(SALU_CYCLE_1) | instskip(NEXT) | instid1(SALU_CYCLE_1)
	s_mul_i32 s38, s39, s28
	s_sub_co_i32 s22, s22, s38
	s_ashr_i32 s38, s37, 31
	s_sub_co_i32 s39, s22, s28
	s_cmp_ge_u32 s22, s28
	s_cselect_b32 s22, s39, s22
	s_delay_alu instid0(SALU_CYCLE_1) | instskip(SKIP_2) | instid1(SALU_CYCLE_1)
	s_sub_co_i32 s39, s22, s28
	s_cmp_ge_u32 s22, s28
	s_cselect_b32 s22, s39, s22
	s_xor_b32 s22, s22, s38
	s_delay_alu instid0(SALU_CYCLE_1) | instskip(NEXT) | instid1(SALU_CYCLE_1)
	s_sub_co_i32 s22, s38, s22
	s_add_co_i32 s22, s36, s22
	s_delay_alu instid0(SALU_CYCLE_1) | instskip(NEXT) | instid1(SALU_CYCLE_1)
	s_add_co_i32 s38, s22, s37
	v_mov_b32_e32 v5, s38
	ds_store_b32 v4, v5 offset:4
	ds_load_b32 v5, v3 offset:8
	s_wait_dscnt 0x0
	v_readfirstlane_b32 s22, v5
	s_add_co_i32 s39, s31, s22
	s_delay_alu instid0(SALU_CYCLE_1) | instskip(NEXT) | instid1(SALU_CYCLE_1)
	s_abs_i32 s22, s39
	s_mul_u64 s[36:37], s[22:23], s[18:19]
	s_delay_alu instid0(SALU_CYCLE_1) | instskip(NEXT) | instid1(SALU_CYCLE_1)
	s_mul_i32 s36, s37, s28
	s_sub_co_i32 s22, s22, s36
	s_ashr_i32 s36, s39, 31
	s_sub_co_i32 s37, s22, s28
	s_cmp_ge_u32 s22, s28
	s_cselect_b32 s22, s37, s22
	s_delay_alu instid0(SALU_CYCLE_1) | instskip(SKIP_2) | instid1(SALU_CYCLE_1)
	s_sub_co_i32 s37, s22, s28
	s_cmp_ge_u32 s22, s28
	s_cselect_b32 s22, s37, s22
	s_xor_b32 s22, s22, s36
	s_delay_alu instid0(SALU_CYCLE_1) | instskip(NEXT) | instid1(SALU_CYCLE_1)
	s_sub_co_i32 s22, s36, s22
	s_add_co_i32 s22, s38, s22
	s_delay_alu instid0(SALU_CYCLE_1) | instskip(NEXT) | instid1(SALU_CYCLE_1)
	s_add_co_i32 s38, s22, s39
	v_mov_b32_e32 v5, s38
	ds_store_b32 v4, v5 offset:8
	ds_load_b32 v5, v3 offset:12
	s_wait_dscnt 0x0
	v_readfirstlane_b32 s22, v5
	;; [unrolled: 26-line block ×6, first 2 shown]
	s_add_co_i32 s39, s31, s22
	s_delay_alu instid0(SALU_CYCLE_1) | instskip(NEXT) | instid1(SALU_CYCLE_1)
	s_abs_i32 s22, s39
	s_mul_u64 s[36:37], s[22:23], s[18:19]
	s_delay_alu instid0(SALU_CYCLE_1) | instskip(NEXT) | instid1(SALU_CYCLE_1)
	s_mul_i32 s36, s37, s28
	s_sub_co_i32 s22, s22, s36
	s_ashr_i32 s36, s39, 31
	s_sub_co_i32 s37, s22, s28
	s_cmp_ge_u32 s22, s28
	s_cselect_b32 s22, s37, s22
	s_delay_alu instid0(SALU_CYCLE_1) | instskip(SKIP_4) | instid1(SALU_CYCLE_1)
	s_sub_co_i32 s37, s22, s28
	s_cmp_ge_u32 s22, s28
	s_cselect_b32 s22, s37, s22
	s_add_co_i32 s34, s34, 32
	s_xor_b32 s22, s22, s36
	s_sub_co_i32 s22, s36, s22
	s_delay_alu instid0(SALU_CYCLE_1) | instskip(NEXT) | instid1(SALU_CYCLE_1)
	s_add_co_i32 s22, s38, s22
	s_add_co_i32 s38, s22, s39
	s_delay_alu instid0(SALU_CYCLE_1)
	v_mov_b32_e32 v5, s38
	ds_store_b32 v4, v5 offset:28
	ds_load_b32 v3, v3 offset:32
	s_wait_dscnt 0x0
	v_readfirstlane_b32 s22, v3
	s_add_co_i32 s39, s31, s22
	s_delay_alu instid0(SALU_CYCLE_1) | instskip(NEXT) | instid1(SALU_CYCLE_1)
	s_abs_i32 s22, s39
	s_mul_u64 s[36:37], s[22:23], s[18:19]
	s_delay_alu instid0(SALU_CYCLE_1) | instskip(NEXT) | instid1(SALU_CYCLE_1)
	s_mul_i32 s36, s37, s28
	s_sub_co_i32 s22, s22, s36
	s_ashr_i32 s36, s39, 31
	s_sub_co_i32 s37, s22, s28
	s_cmp_ge_u32 s22, s28
	s_cselect_b32 s22, s37, s22
	s_delay_alu instid0(SALU_CYCLE_1) | instskip(SKIP_2) | instid1(SALU_CYCLE_1)
	s_sub_co_i32 s37, s22, s28
	s_cmp_ge_u32 s22, s28
	s_cselect_b32 s22, s37, s22
	s_xor_b32 s22, s22, s36
	s_delay_alu instid0(SALU_CYCLE_1) | instskip(NEXT) | instid1(SALU_CYCLE_1)
	s_sub_co_i32 s22, s36, s22
	s_add_co_i32 s22, s38, s22
	s_delay_alu instid0(SALU_CYCLE_1) | instskip(SKIP_3) | instid1(SALU_CYCLE_1)
	s_add_co_i32 s36, s22, s39
	s_mov_b32 s22, s35
	v_mov_b32_e32 v3, s36
	s_add_co_i32 s35, s35, 8
	s_cmp_eq_u32 s21, s35
	ds_store_b32 v4, v3 offset:32
	s_cbranch_scc0 .LBB0_40
; %bb.41:
	s_add_co_i32 s22, s22, 9
.LBB0_42:
	s_and_b32 s21, s4, 7
	s_mov_b32 s23, 0
	s_cmp_eq_u32 s21, 0
	s_cbranch_scc1 .LBB0_45
; %bb.43:
	s_lshl_b32 s22, s22, 2
	s_delay_alu instid0(SALU_CYCLE_1) | instskip(NEXT) | instid1(SALU_CYCLE_1)
	s_add_co_i32 s22, s22, 0
	s_add_co_i32 s34, s22, -4
	s_lshl_b32 s22, s26, 2
	v_mov_b32_e32 v3, s34
	s_addk_co_i32 s22, 0xfc04
	s_delay_alu instid0(SALU_CYCLE_1)
	s_mul_i32 s33, s4, s22
	ds_load_b32 v3, v3
.LBB0_44:                               ; =>This Inner Loop Header: Depth=1
	s_add_co_i32 s22, s34, s33
	s_delay_alu instid0(SALU_CYCLE_1) | instskip(SKIP_4) | instid1(SALU_CYCLE_1)
	v_mov_b32_e32 v4, s22
	ds_load_b32 v4, v4 offset:4
	s_wait_dscnt 0x0
	v_readfirstlane_b32 s22, v4
	s_add_co_i32 s35, s31, s22
	s_abs_i32 s22, s35
	s_delay_alu instid0(SALU_CYCLE_1) | instskip(NEXT) | instid1(SALU_CYCLE_1)
	s_mul_u64 s[36:37], s[22:23], s[18:19]
	s_mul_i32 s36, s37, s28
	s_add_co_i32 s37, s34, 4
	s_sub_co_i32 s22, s22, s36
	s_ashr_i32 s36, s35, 31
	s_sub_co_i32 s38, s22, s28
	s_cmp_ge_u32 s22, s28
	s_cselect_b32 s22, s38, s22
	s_delay_alu instid0(SALU_CYCLE_1) | instskip(SKIP_4) | instid1(SALU_CYCLE_1)
	s_sub_co_i32 s38, s22, s28
	s_cmp_ge_u32 s22, s28
	s_cselect_b32 s22, s38, s22
	s_add_co_i32 s21, s21, -1
	s_xor_b32 s22, s22, s36
	s_sub_co_i32 s22, s36, s22
	s_cmp_eq_u32 s21, 0
	v_dual_mov_b32 v4, s34 :: v_dual_add_nc_u32 v3, s22, v3
	s_mov_b32 s34, s37
	s_delay_alu instid0(VALU_DEP_1)
	v_add_nc_u32_e32 v3, s35, v3
	ds_store_b32 v4, v3 offset:4
	s_cbranch_scc0 .LBB0_44
.LBB0_45:
	v_mov_b32_e32 v3, s27
	ds_load_b32 v3, v3
	s_wait_dscnt 0x0
	global_store_b32 v1, v3, s[10:11]
.LBB0_46:
	s_wait_xcnt 0x0
	s_or_b32 exec_lo, exec_lo, s2
	s_wait_storecnt 0x0
	s_barrier_signal -1
	s_barrier_wait -1
	s_and_saveexec_b32 s2, s1
	s_cbranch_execz .LBB0_55
; %bb.47:
	v_lshl_add_u32 v1, v10, 2, 0
	ds_load_2addr_b32 v[4:5], v1 offset1:1
	s_wait_dscnt 0x0
	v_cmp_lt_i32_e32 vcc_lo, v4, v5
	s_and_b32 exec_lo, exec_lo, vcc_lo
	s_cbranch_execz .LBB0_55
; %bb.48:
	s_cvt_f32_u32 s1, s5
	v_add_nc_u32_e32 v1, s5, v4
	s_sub_co_i32 s10, 0, s5
	s_delay_alu instid0(SALU_CYCLE_1) | instskip(NEXT) | instid1(VALU_DEP_1)
	v_rcp_iflag_f32_e32 v3, s1
	v_cmp_lt_i32_e32 vcc_lo, v1, v5
	v_add_co_ci_u32_e64 v6, null, s5, v4, vcc_lo
	s_delay_alu instid0(TRANS32_DEP_1) | instskip(SKIP_2) | instid1(VALU_DEP_1)
	v_readfirstlane_b32 s1, v3
	v_max_i32_e32 v3, v5, v1
	s_mul_f32 s1, s1, 0x4f7ffffe
	v_sub_nc_u32_e32 v3, v3, v6
	s_delay_alu instid0(SALU_CYCLE_2) | instskip(NEXT) | instid1(SALU_CYCLE_3)
	s_cvt_u32_f32 s1, s1
	s_mul_i32 s10, s10, s1
	s_delay_alu instid0(SALU_CYCLE_1) | instskip(NEXT) | instid1(SALU_CYCLE_1)
	s_mul_hi_u32 s10, s1, s10
	s_add_co_i32 s1, s1, s10
	s_mov_b32 s10, exec_lo
	v_mul_hi_u32 v6, v3, s1
	s_delay_alu instid0(VALU_DEP_1) | instskip(NEXT) | instid1(VALU_DEP_1)
	v_mul_lo_u32 v7, v6, s5
	v_dual_sub_nc_u32 v3, v3, v7 :: v_dual_add_nc_u32 v7, 1, v6
	s_delay_alu instid0(VALU_DEP_1) | instskip(NEXT) | instid1(VALU_DEP_1)
	v_cmp_le_u32_e64 s1, s5, v3
	v_cndmask_b32_e64 v6, v6, v7, s1
	v_subrev_nc_u32_e32 v8, s5, v3
	s_delay_alu instid0(VALU_DEP_1) | instskip(NEXT) | instid1(VALU_DEP_1)
	v_dual_add_nc_u32 v7, 1, v6 :: v_dual_cndmask_b32 v3, v3, v8, s1
	v_cmp_le_u32_e64 s1, s5, v3
	s_delay_alu instid0(VALU_DEP_1) | instskip(SKIP_1) | instid1(VALU_DEP_1)
	v_cndmask_b32_e64 v3, v6, v7, s1
	s_mov_b32 s1, -1
	v_add_co_ci_u32_e64 v3, null, 1, v3, vcc_lo
	s_delay_alu instid0(VALU_DEP_1)
	v_cmpx_lt_u32_e32 1, v3
	s_cbranch_execz .LBB0_52
; %bb.49:
	v_dual_mov_b32 v6, v4 :: v_dual_bitop2_b32 v7, -2, v3 bitop3:0x40
	v_mov_b32_e32 v9, 0
	s_lshl_b32 s11, s5, 1
	s_mov_b32 s21, 0
	s_delay_alu instid0(VALU_DEP_2)
	v_mov_b32_e32 v11, v7
	s_mov_b32 s22, s11
.LBB0_50:                               ; =>This Inner Loop Header: Depth=1
	v_dual_sub_nc_u32 v8, 0, v6 :: v_dual_sub_nc_u32 v14, 0, v1
	s_delay_alu instid0(VALU_DEP_2) | instskip(NEXT) | instid1(VALU_DEP_2)
	v_dual_ashrrev_i32 v16, 31, v6 :: v_dual_add_nc_u32 v11, -2, v11
	v_dual_add_nc_u32 v6, s11, v6 :: v_dual_max_i32 v8, v6, v8
	s_delay_alu instid0(VALU_DEP_1) | instskip(NEXT) | instid1(VALU_DEP_1)
	v_mul_u64_e32 v[12:13], s[18:19], v[8:9]
	v_mul_lo_u32 v12, v13, s28
	s_delay_alu instid0(VALU_DEP_1) | instskip(NEXT) | instid1(VALU_DEP_1)
	v_dual_sub_nc_u32 v12, v8, v12 :: v_dual_max_i32 v8, v1, v14
	v_cmp_le_u32_e32 vcc_lo, s28, v12
	s_delay_alu instid0(VALU_DEP_2) | instskip(SKIP_1) | instid1(VALU_DEP_2)
	v_mul_u64_e32 v[14:15], s[18:19], v[8:9]
	v_dual_ashrrev_i32 v17, 31, v1 :: v_dual_add_nc_u32 v1, s22, v1
	v_mul_lo_u32 v14, v15, s28
	v_dual_add_nc_u32 v18, 1, v13 :: v_dual_add_nc_u32 v19, 1, v15
	s_delay_alu instid0(VALU_DEP_2) | instskip(SKIP_2) | instid1(VALU_DEP_3)
	v_dual_sub_nc_u32 v8, v8, v14 :: v_dual_bitop2_b32 v17, s29, v17 bitop3:0x14
	v_subrev_nc_u32_e32 v14, s28, v12
	v_xor_b32_e32 v16, s29, v16
	v_cmp_le_u32_e64 s1, s28, v8
	v_cndmask_b32_e32 v13, v13, v18, vcc_lo
	v_subrev_nc_u32_e32 v18, s28, v8
	s_delay_alu instid0(VALU_DEP_3) | instskip(NEXT) | instid1(VALU_DEP_2)
	v_dual_cndmask_b32 v12, v12, v14, vcc_lo :: v_dual_cndmask_b32 v15, v15, v19, s1
	v_dual_add_nc_u32 v14, 1, v13 :: v_dual_cndmask_b32 v8, v8, v18, s1
	s_delay_alu instid0(VALU_DEP_2) | instskip(NEXT) | instid1(VALU_DEP_2)
	v_cmp_le_u32_e32 vcc_lo, s28, v12
	v_dual_add_nc_u32 v18, 1, v15 :: v_dual_cndmask_b32 v12, v13, v14, vcc_lo
	s_delay_alu instid0(VALU_DEP_3) | instskip(NEXT) | instid1(VALU_DEP_2)
	v_cmp_le_u32_e32 vcc_lo, s28, v8
	v_dual_cndmask_b32 v8, v15, v18, vcc_lo :: v_dual_bitop2_b32 v12, v12, v16 bitop3:0x14
	v_cmp_eq_u32_e32 vcc_lo, 0, v11
	s_delay_alu instid0(VALU_DEP_2) | instskip(NEXT) | instid1(VALU_DEP_3)
	v_sub_nc_u32_e32 v12, v12, v16
	v_xor_b32_e32 v8, v8, v17
	s_or_b32 s21, vcc_lo, s21
	s_delay_alu instid0(VALU_DEP_1)
	v_sub_nc_u32_e32 v8, v8, v17
	s_clause 0x1
	global_store_b32 v12, v10, s[8:9] scale_offset
	global_store_b32 v8, v10, s[8:9] scale_offset
	s_wait_xcnt 0x0
	s_and_not1_b32 exec_lo, exec_lo, s21
	s_cbranch_execnz .LBB0_50
; %bb.51:
	s_or_b32 exec_lo, exec_lo, s21
	v_mad_u32 v4, v7, s5, v4
	v_cmp_ne_u32_e32 vcc_lo, v3, v7
	s_or_not1_b32 s1, vcc_lo, exec_lo
.LBB0_52:
	s_or_b32 exec_lo, exec_lo, s10
	s_delay_alu instid0(SALU_CYCLE_1)
	s_and_b32 exec_lo, exec_lo, s1
	s_cbranch_execz .LBB0_55
; %bb.53:
	v_mov_b32_e32 v7, 0
	s_mov_b32 s1, 0
.LBB0_54:                               ; =>This Inner Loop Header: Depth=1
	s_delay_alu instid0(VALU_DEP_3) | instskip(NEXT) | instid1(VALU_DEP_1)
	v_sub_nc_u32_e32 v1, 0, v4
	v_max_i32_e32 v6, v4, v1
	s_delay_alu instid0(VALU_DEP_1) | instskip(SKIP_1) | instid1(VALU_DEP_2)
	v_mul_u64_e32 v[8:9], s[18:19], v[6:7]
	v_dual_ashrrev_i32 v8, 31, v4 :: v_dual_add_nc_u32 v4, s5, v4
	v_mul_lo_u32 v1, v9, s28
	v_add_nc_u32_e32 v3, 1, v9
	s_delay_alu instid0(VALU_DEP_2) | instskip(NEXT) | instid1(VALU_DEP_1)
	v_sub_nc_u32_e32 v1, v6, v1
	v_subrev_nc_u32_e32 v6, s28, v1
	v_cmp_le_u32_e32 vcc_lo, s28, v1
	s_delay_alu instid0(VALU_DEP_4) | instskip(NEXT) | instid1(VALU_DEP_1)
	v_cndmask_b32_e32 v3, v9, v3, vcc_lo
	v_dual_cndmask_b32 v1, v1, v6 :: v_dual_add_nc_u32 v6, 1, v3
	s_delay_alu instid0(VALU_DEP_1) | instskip(NEXT) | instid1(VALU_DEP_2)
	v_cmp_le_u32_e32 vcc_lo, s28, v1
	v_dual_cndmask_b32 v1, v3, v6, vcc_lo :: v_dual_bitop2_b32 v8, s29, v8 bitop3:0x14
	v_cmp_ge_i32_e32 vcc_lo, v4, v5
	s_delay_alu instid0(VALU_DEP_2) | instskip(SKIP_1) | instid1(VALU_DEP_1)
	v_xor_b32_e32 v1, v1, v8
	s_or_b32 s1, vcc_lo, s1
	v_sub_nc_u32_e32 v1, v1, v8
	global_store_b32 v1, v10, s[8:9] scale_offset
	s_wait_xcnt 0x0
	s_and_not1_b32 exec_lo, exec_lo, s1
	s_cbranch_execnz .LBB0_54
.LBB0_55:
	s_or_b32 exec_lo, exec_lo, s2
	v_mov_b32_e32 v1, s27
	s_mul_i32 s1, s3, s28
	s_xor_b32 s5, s30, s29
	s_sub_co_i32 s1, s20, s1
	s_add_co_i32 s2, s3, 1
	ds_load_b32 v1, v1
	s_sub_co_i32 s10, s1, s28
	s_cmp_ge_u32 s1, s28
	s_cselect_b32 s2, s2, s3
	s_cselect_b32 s1, s10, s1
	s_add_co_i32 s3, s2, 1
	s_cmp_ge_u32 s1, s28
	s_cselect_b32 s2, s3, s2
	s_mov_b32 s3, 0
	s_xor_b32 s10, s2, s5
	s_delay_alu instid0(SALU_CYCLE_1)
	s_sub_co_i32 s5, s10, s5
	s_wait_dscnt 0x0
	v_readfirstlane_b32 s1, v1
	s_abs_i32 s2, s1
	s_ashr_i32 s1, s1, 31
	s_mul_u64 s[10:11], s[2:3], s[18:19]
	s_xor_b32 s1, s1, s29
	s_mul_i32 s3, s11, s28
	s_delay_alu instid0(SALU_CYCLE_1)
	s_sub_co_i32 s2, s2, s3
	s_add_co_i32 s3, s11, 1
	s_sub_co_i32 s10, s2, s28
	s_cmp_ge_u32 s2, s28
	s_cselect_b32 s3, s3, s11
	s_cselect_b32 s2, s10, s2
	s_add_co_i32 s10, s3, 1
	s_cmp_ge_u32 s2, s28
	s_cselect_b32 s2, s10, s3
	s_mov_b32 s10, exec_lo
	s_xor_b32 s2, s2, s1
	s_delay_alu instid0(SALU_CYCLE_1) | instskip(NEXT) | instid1(SALU_CYCLE_1)
	s_sub_co_i32 s1, s2, s1
	v_add_nc_u32_e32 v4, s1, v10
	s_delay_alu instid0(VALU_DEP_1)
	v_cmpx_gt_i32_e64 s5, v4
	s_cbranch_execz .LBB0_63
; %bb.56:
	v_add_nc_u32_e32 v0, s1, v0
	s_cvt_f32_u32 s1, s25
	s_sub_co_i32 s2, 0, s25
	s_delay_alu instid0(SALU_CYCLE_2) | instskip(NEXT) | instid1(VALU_DEP_1)
	v_rcp_iflag_f32_e32 v3, s1
	v_add_nc_u32_e32 v1, s26, v0
	s_delay_alu instid0(VALU_DEP_1) | instskip(NEXT) | instid1(TRANS32_DEP_1)
	v_add_max_i32_e64 v1, 0xfffffe00, v1, s5
	v_readfirstlane_b32 s1, v3
	s_delay_alu instid0(VALU_DEP_2) | instskip(SKIP_1) | instid1(VALU_DEP_1)
	v_sub_nc_u32_e32 v0, v1, v0
	s_mul_f32 s1, s1, 0x4f7ffffe
	v_add_nc_u32_e32 v0, 0x200, v0
	s_delay_alu instid0(SALU_CYCLE_2) | instskip(NEXT) | instid1(SALU_CYCLE_3)
	s_cvt_u32_f32 s1, s1
	s_mul_i32 s2, s2, s1
	s_delay_alu instid0(VALU_DEP_1) | instskip(SKIP_1) | instid1(SALU_CYCLE_1)
	v_cmp_ne_u32_e32 vcc_lo, s26, v0
	s_mul_hi_u32 s2, s1, s2
	s_add_co_i32 s1, s1, s2
	s_mov_b32 s2, -1
	v_add_co_ci_u32_e64 v1, null, s26, 0, vcc_lo
	s_delay_alu instid0(VALU_DEP_1) | instskip(NEXT) | instid1(VALU_DEP_1)
	v_sub_nc_u32_e32 v0, v0, v1
	v_mul_hi_u32 v1, v0, s1
	s_delay_alu instid0(VALU_DEP_1) | instskip(NEXT) | instid1(VALU_DEP_1)
	v_mul_lo_u32 v3, v1, s25
	v_dual_sub_nc_u32 v0, v0, v3 :: v_dual_add_nc_u32 v3, 1, v1
	s_delay_alu instid0(VALU_DEP_1) | instskip(SKIP_1) | instid1(VALU_DEP_1)
	v_subrev_nc_u32_e32 v5, s25, v0
	v_cmp_le_u32_e64 s1, s25, v0
	v_dual_cndmask_b32 v1, v1, v3, s1 :: v_dual_cndmask_b32 v0, v0, v5, s1
	s_delay_alu instid0(VALU_DEP_1) | instskip(NEXT) | instid1(VALU_DEP_2)
	v_add_nc_u32_e32 v3, 1, v1
	v_cmp_le_u32_e64 s1, s25, v0
	s_delay_alu instid0(VALU_DEP_1) | instskip(SKIP_1) | instid1(VALU_DEP_1)
	v_cndmask_b32_e64 v0, v1, v3, s1
	s_mov_b32 s1, exec_lo
	v_add_co_ci_u32_e64 v3, null, 1, v0, vcc_lo
	s_delay_alu instid0(VALU_DEP_1)
	v_cmpx_lt_u32_e32 1, v3
	s_cbranch_execz .LBB0_60
; %bb.57:
	v_dual_add_nc_u32 v5, s25, v4 :: v_dual_bitop2_b32 v6, -2, v3 bitop3:0x40
	v_mov_b32_e32 v7, 0
	s_lshl_b32 s2, s25, 1
	s_mov_b32 s3, 0
	s_delay_alu instid0(VALU_DEP_2)
	v_mov_b32_e32 v8, v6
	v_mov_b64_e32 v[0:1], v[4:5]
	s_mov_b32 s11, s2
.LBB0_58:                               ; =>This Inner Loop Header: Depth=1
	s_delay_alu instid0(VALU_DEP_2)
	v_add_nc_u32_e32 v8, -2, v8
	s_clause 0x1
	global_store_b32 v0, v7, s[8:9] scale_offset
	global_store_b32 v1, v7, s[8:9] scale_offset
	s_wait_xcnt 0x0
	v_dual_add_nc_u32 v1, s11, v1 :: v_dual_add_nc_u32 v0, s2, v0
	v_cmp_eq_u32_e32 vcc_lo, 0, v8
	s_or_b32 s3, vcc_lo, s3
	s_delay_alu instid0(SALU_CYCLE_1)
	s_and_not1_b32 exec_lo, exec_lo, s3
	s_cbranch_execnz .LBB0_58
; %bb.59:
	s_or_b32 exec_lo, exec_lo, s3
	v_mad_u32 v4, v6, s25, v4
	v_cmp_ne_u32_e32 vcc_lo, v3, v6
	s_or_not1_b32 s2, vcc_lo, exec_lo
.LBB0_60:
	s_or_b32 exec_lo, exec_lo, s1
	s_delay_alu instid0(SALU_CYCLE_1)
	s_and_b32 exec_lo, exec_lo, s2
	s_cbranch_execz .LBB0_63
; %bb.61:
	s_delay_alu instid0(VALU_DEP_2) | instskip(SKIP_2) | instid1(VALU_DEP_1)
	v_dual_ashrrev_i32 v5, 31, v4 :: v_dual_mov_b32 v3, 0
	s_lshl_b32 s2, s26, 2
	s_mov_b32 s3, 0
	v_lshl_add_u64 v[0:1], v[4:5], 2, s[8:9]
	s_mov_b64 s[8:9], 0xfffffffffffffc00
	s_delay_alu instid0(SALU_CYCLE_1)
	s_add_nc_u64 s[8:9], s[2:3], s[8:9]
.LBB0_62:                               ; =>This Inner Loop Header: Depth=1
	v_add_nc_u32_e32 v4, s25, v4
	global_store_b32 v[0:1], v3, off
	s_wait_xcnt 0x0
	v_add_nc_u64_e32 v[0:1], s[8:9], v[0:1]
	v_cmp_le_i32_e32 vcc_lo, s5, v4
	s_or_b32 s3, vcc_lo, s3
	s_delay_alu instid0(SALU_CYCLE_1)
	s_and_not1_b32 exec_lo, exec_lo, s3
	s_cbranch_execnz .LBB0_62
.LBB0_63:
	s_or_b32 exec_lo, exec_lo, s10
	s_and_saveexec_b32 s5, s0
	s_cbranch_execz .LBB0_70
; %bb.64:
	v_mov_b32_e32 v3, 0
	v_mul_lo_u32 v4, s4, v10
	s_mov_b64 s[2:3], 0xfffffffffffffc00
	s_cmp_eq_u64 s[14:15], 0
	s_mov_b32 s1, 0
	v_add_nc_u64_e32 v[0:1], s[16:17], v[2:3]
	s_cselect_b32 s4, -1, 0
	s_cmp_lg_u64 s[14:15], 0
	s_cselect_b32 s8, -1, 0
	s_lshl_b32 s0, s26, 2
	s_delay_alu instid0(VALU_DEP_2) | instskip(NEXT) | instid1(VALU_DEP_2)
	v_lshl_add_u32 v2, v4, 2, s27
	v_add_nc_u64_e32 v[0:1], s[2:3], v[0:1]
	s_add_nc_u64 s[2:3], s[0:1], s[2:3]
	s_branch .LBB0_67
.LBB0_65:                               ;   in Loop: Header=BB0_67 Depth=1
	s_wait_loadcnt 0x0
	v_lshlrev_b32_e32 v3, 2, v3
	s_delay_alu instid0(VALU_DEP_1)
	v_dual_add_nc_u32 v4, v2, v3 :: v_dual_add_nc_u32 v3, 0, v3
	ds_load_b32 v5, v4 offset:4
	ds_load_b32 v3, v3
	s_wait_dscnt 0x0
	v_dual_add_nc_u32 v3, v3, v5 :: v_dual_add_nc_u32 v5, 1, v5
	global_store_b32 v3, v10, s[12:13] scale_offset
	ds_store_b32 v4, v5 offset:4
.LBB0_66:                               ;   in Loop: Header=BB0_67 Depth=1
	s_wait_xcnt 0x0
	s_or_b32 exec_lo, exec_lo, s0
	v_add_nc_u32_e32 v10, s25, v10
	v_add_nc_u64_e32 v[0:1], s[2:3], v[0:1]
	s_delay_alu instid0(VALU_DEP_2) | instskip(SKIP_1) | instid1(SALU_CYCLE_1)
	v_cmp_le_i32_e32 vcc_lo, s6, v10
	s_or_b32 s1, vcc_lo, s1
	s_and_not1_b32 exec_lo, exec_lo, s1
	s_cbranch_execz .LBB0_70
.LBB0_67:                               ; =>This Inner Loop Header: Depth=1
	s_wait_loadcnt 0x0
	global_load_b32 v3, v[0:1], off
	s_and_not1_b32 vcc_lo, exec_lo, s8
	s_cbranch_vccnz .LBB0_69
; %bb.68:                               ;   in Loop: Header=BB0_67 Depth=1
	s_wait_loadcnt 0x0
	global_load_b32 v3, v3, s[14:15] scale_offset
	s_and_not1_b32 s0, s4, exec_lo
	s_wait_loadcnt 0x0
	v_cmp_ne_u32_e32 vcc_lo, -1, v3
	s_and_b32 s9, vcc_lo, exec_lo
	s_delay_alu instid0(SALU_CYCLE_1)
	s_or_b32 s9, s0, s9
	s_wait_xcnt 0x0
	s_and_saveexec_b32 s0, s9
	s_cbranch_execz .LBB0_66
	s_branch .LBB0_65
.LBB0_69:                               ;   in Loop: Header=BB0_67 Depth=1
	s_mov_b32 s9, s4
	s_wait_xcnt 0x0
	s_and_saveexec_b32 s0, s9
	s_cbranch_execz .LBB0_66
	s_branch .LBB0_65
.LBB0_70:
	s_or_b32 exec_lo, exec_lo, s5
                                        ; implicit-def: $vgpr0
.LBB0_71:
	s_and_not1_saveexec_b32 s0, s24
	s_cbranch_execz .LBB0_81
; %bb.72:
	s_mov_b32 s0, exec_lo
	v_cmpx_gt_i32_e64 s7, v0
	s_cbranch_execz .LBB0_80
; %bb.73:
	v_xad_u32 v1, v0, -1, s7
	s_mov_b32 s2, -1
	s_mov_b32 s1, exec_lo
	s_delay_alu instid0(VALU_DEP_1)
	v_cmpx_lt_u32_e32 0xff, v1
	s_cbranch_execz .LBB0_77
; %bb.74:
	s_wait_loadcnt 0x0
	v_dual_lshrrev_b32 v1, 8, v1 :: v_dual_mov_b32 v3, 0
	s_mov_b32 s2, 0
	s_delay_alu instid0(VALU_DEP_1) | instskip(SKIP_1) | instid1(VALU_DEP_2)
	v_dual_mov_b32 v8, s6 :: v_dual_add_nc_u32 v6, 1, v1
	v_or_b32_e32 v1, 0x100, v0
	v_and_b32_e32 v7, 0x1fffffe, v6
	s_delay_alu instid0(VALU_DEP_2) | instskip(NEXT) | instid1(VALU_DEP_2)
	v_mov_b64_e32 v[4:5], v[0:1]
	v_mov_b32_e32 v9, v7
.LBB0_75:                               ; =>This Inner Loop Header: Depth=1
	s_delay_alu instid0(VALU_DEP_1) | instskip(SKIP_1) | instid1(VALU_DEP_2)
	v_dual_mov_b32 v2, v4 :: v_dual_add_nc_u32 v9, -2, v9
	v_add_nc_u32_e32 v4, 0x200, v4
	v_lshl_add_u64 v[10:11], v[2:3], 2, s[12:13]
	v_dual_mov_b32 v2, v5 :: v_dual_add_nc_u32 v5, 0x200, v5
	s_delay_alu instid0(VALU_DEP_4) | instskip(NEXT) | instid1(VALU_DEP_2)
	v_cmp_eq_u32_e32 vcc_lo, 0, v9
	v_lshl_add_u64 v[12:13], v[2:3], 2, s[12:13]
	s_clause 0x1
	global_store_b32 v[10:11], v8, off
	global_store_b32 v[12:13], v8, off
	s_or_b32 s2, vcc_lo, s2
	s_wait_xcnt 0x0
	s_and_not1_b32 exec_lo, exec_lo, s2
	s_cbranch_execnz .LBB0_75
; %bb.76:
	s_or_b32 exec_lo, exec_lo, s2
	v_cmp_ne_u32_e32 vcc_lo, v6, v7
	v_lshl_or_b32 v0, v7, 8, v0
	s_or_not1_b32 s2, vcc_lo, exec_lo
.LBB0_77:
	s_or_b32 exec_lo, exec_lo, s1
	s_delay_alu instid0(SALU_CYCLE_1)
	s_and_b32 exec_lo, exec_lo, s2
	s_cbranch_execz .LBB0_80
; %bb.78:
	v_mov_b32_e32 v1, 0
	s_mov_b32 s1, 0
	s_wait_loadcnt 0x0
	s_delay_alu instid0(VALU_DEP_1)
	v_lshl_add_u64 v[2:3], v[0:1], 2, s[12:13]
	v_mov_b32_e32 v1, s6
.LBB0_79:                               ; =>This Inner Loop Header: Depth=1
	v_add_nc_u32_e32 v0, 0x100, v0
	global_store_b32 v[2:3], v1, off
	s_wait_xcnt 0x0
	v_add_nc_u64_e32 v[2:3], 0x400, v[2:3]
	v_cmp_le_i32_e32 vcc_lo, s7, v0
	s_or_b32 s1, vcc_lo, s1
	s_delay_alu instid0(SALU_CYCLE_1)
	s_and_not1_b32 exec_lo, exec_lo, s1
	s_cbranch_execnz .LBB0_79
.LBB0_80:
	s_or_b32 exec_lo, exec_lo, s0
	s_wait_storecnt 0x0
	s_wait_loadcnt_dscnt 0x0
	s_barrier_signal -1
	s_barrier_wait -1
.LBB0_81:
	s_endpgm
	.section	.rodata,"a",@progbits
	.p2align	6, 0x0
	.amdhsa_kernel _Z46moe_align_block_size_small_batch_expert_kernelIiLi256EEvPKT_PiS3_S3_S3_iiiii
		.amdhsa_group_segment_fixed_size 0
		.amdhsa_private_segment_fixed_size 0
		.amdhsa_kernarg_size 320
		.amdhsa_user_sgpr_count 2
		.amdhsa_user_sgpr_dispatch_ptr 0
		.amdhsa_user_sgpr_queue_ptr 0
		.amdhsa_user_sgpr_kernarg_segment_ptr 1
		.amdhsa_user_sgpr_dispatch_id 0
		.amdhsa_user_sgpr_kernarg_preload_length 0
		.amdhsa_user_sgpr_kernarg_preload_offset 0
		.amdhsa_user_sgpr_private_segment_size 0
		.amdhsa_wavefront_size32 1
		.amdhsa_uses_dynamic_stack 0
		.amdhsa_enable_private_segment 0
		.amdhsa_system_sgpr_workgroup_id_x 1
		.amdhsa_system_sgpr_workgroup_id_y 0
		.amdhsa_system_sgpr_workgroup_id_z 0
		.amdhsa_system_sgpr_workgroup_info 0
		.amdhsa_system_vgpr_workitem_id 0
		.amdhsa_next_free_vgpr 20
		.amdhsa_next_free_sgpr 40
		.amdhsa_named_barrier_count 0
		.amdhsa_reserve_vcc 1
		.amdhsa_float_round_mode_32 0
		.amdhsa_float_round_mode_16_64 0
		.amdhsa_float_denorm_mode_32 3
		.amdhsa_float_denorm_mode_16_64 3
		.amdhsa_fp16_overflow 0
		.amdhsa_memory_ordered 1
		.amdhsa_forward_progress 1
		.amdhsa_inst_pref_size 45
		.amdhsa_round_robin_scheduling 0
		.amdhsa_exception_fp_ieee_invalid_op 0
		.amdhsa_exception_fp_denorm_src 0
		.amdhsa_exception_fp_ieee_div_zero 0
		.amdhsa_exception_fp_ieee_overflow 0
		.amdhsa_exception_fp_ieee_underflow 0
		.amdhsa_exception_fp_ieee_inexact 0
		.amdhsa_exception_int_div_zero 0
	.end_amdhsa_kernel
	.section	.text._Z46moe_align_block_size_small_batch_expert_kernelIiLi256EEvPKT_PiS3_S3_S3_iiiii,"axG",@progbits,_Z46moe_align_block_size_small_batch_expert_kernelIiLi256EEvPKT_PiS3_S3_S3_iiiii,comdat
.Lfunc_end0:
	.size	_Z46moe_align_block_size_small_batch_expert_kernelIiLi256EEvPKT_PiS3_S3_S3_iiiii, .Lfunc_end0-_Z46moe_align_block_size_small_batch_expert_kernelIiLi256EEvPKT_PiS3_S3_S3_iiiii
                                        ; -- End function
	.set _Z46moe_align_block_size_small_batch_expert_kernelIiLi256EEvPKT_PiS3_S3_S3_iiiii.num_vgpr, 20
	.set _Z46moe_align_block_size_small_batch_expert_kernelIiLi256EEvPKT_PiS3_S3_S3_iiiii.num_agpr, 0
	.set _Z46moe_align_block_size_small_batch_expert_kernelIiLi256EEvPKT_PiS3_S3_S3_iiiii.numbered_sgpr, 40
	.set _Z46moe_align_block_size_small_batch_expert_kernelIiLi256EEvPKT_PiS3_S3_S3_iiiii.num_named_barrier, 0
	.set _Z46moe_align_block_size_small_batch_expert_kernelIiLi256EEvPKT_PiS3_S3_S3_iiiii.private_seg_size, 0
	.set _Z46moe_align_block_size_small_batch_expert_kernelIiLi256EEvPKT_PiS3_S3_S3_iiiii.uses_vcc, 1
	.set _Z46moe_align_block_size_small_batch_expert_kernelIiLi256EEvPKT_PiS3_S3_S3_iiiii.uses_flat_scratch, 0
	.set _Z46moe_align_block_size_small_batch_expert_kernelIiLi256EEvPKT_PiS3_S3_S3_iiiii.has_dyn_sized_stack, 0
	.set _Z46moe_align_block_size_small_batch_expert_kernelIiLi256EEvPKT_PiS3_S3_S3_iiiii.has_recursion, 0
	.set _Z46moe_align_block_size_small_batch_expert_kernelIiLi256EEvPKT_PiS3_S3_S3_iiiii.has_indirect_call, 0
	.section	.AMDGPU.csdata,"",@progbits
; Kernel info:
; codeLenInByte = 5644
; TotalNumSgprs: 42
; NumVgprs: 20
; ScratchSize: 0
; MemoryBound: 0
; FloatMode: 240
; IeeeMode: 1
; LDSByteSize: 0 bytes/workgroup (compile time only)
; SGPRBlocks: 0
; VGPRBlocks: 1
; NumSGPRsForWavesPerEU: 42
; NumVGPRsForWavesPerEU: 20
; NamedBarCnt: 0
; Occupancy: 16
; WaveLimiterHint : 1
; COMPUTE_PGM_RSRC2:SCRATCH_EN: 0
; COMPUTE_PGM_RSRC2:USER_SGPR: 2
; COMPUTE_PGM_RSRC2:TRAP_HANDLER: 0
; COMPUTE_PGM_RSRC2:TGID_X_EN: 1
; COMPUTE_PGM_RSRC2:TGID_Y_EN: 0
; COMPUTE_PGM_RSRC2:TGID_Z_EN: 0
; COMPUTE_PGM_RSRC2:TIDIG_COMP_CNT: 0
	.section	.text._Z27moe_align_block_size_kernelIiEvPKT_PiS3_S3_S3_iiiiiS3_ii,"axG",@progbits,_Z27moe_align_block_size_kernelIiEvPKT_PiS3_S3_S3_iiiiiS3_ii,comdat
	.protected	_Z27moe_align_block_size_kernelIiEvPKT_PiS3_S3_S3_iiiiiS3_ii ; -- Begin function _Z27moe_align_block_size_kernelIiEvPKT_PiS3_S3_S3_iiiiiS3_ii
	.globl	_Z27moe_align_block_size_kernelIiEvPKT_PiS3_S3_S3_iiiiiS3_ii
	.p2align	8
	.type	_Z27moe_align_block_size_kernelIiEvPKT_PiS3_S3_S3_iiiiiS3_ii,@function
_Z27moe_align_block_size_kernelIiEvPKT_PiS3_S3_S3_iiiiiS3_ii: ; @_Z27moe_align_block_size_kernelIiEvPKT_PiS3_S3_S3_iiiiiS3_ii
; %bb.0:
	s_clause 0x2
	s_load_b128 s[4:7], s[0:1], 0x28
	s_load_b32 s19, s[0:1], 0x38
	s_load_b32 s8, s[0:1], 0x48
	s_lshr_b32 s3, ttmp6, 12
	s_mov_b32 s13, 0
	s_add_co_i32 s3, s3, 1
	s_wait_kmcnt 0x0
	s_abs_i32 s18, s7
	s_delay_alu instid0(SALU_CYCLE_1) | instskip(NEXT) | instid1(SALU_CYCLE_3)
	s_cvt_f32_u32 s2, s18
	v_rcp_iflag_f32_e32 v1, s2
	s_mul_i32 s2, ttmp9, s3
	s_getreg_b32 s3, hwreg(HW_REG_IB_STS2, 6, 4)
	s_add_co_i32 s2, ttmp6, s2
	s_cmp_eq_u32 s3, 0
	s_cselect_b32 s3, ttmp9, s2
	v_nop
	v_readfirstlane_b32 s9, v1
	s_mov_b32 s2, -1
	s_bitcmp0_b32 s3, 0
	s_cbranch_scc1 .LBB1_5
; %bb.1:
	s_mov_b32 s10, exec_lo
	v_cmpx_gt_i32_e64 s8, v0
	s_cbranch_execz .LBB1_4
; %bb.2:
	s_clause 0x1
	s_load_b32 s11, s[0:1], 0x5c
	s_load_b64 s[2:3], s[0:1], 0x8
	v_dual_mov_b32 v1, s19 :: v_dual_mov_b32 v2, v0
	s_mov_b32 s12, 0
	s_wait_kmcnt 0x0
	s_and_b32 s11, s11, 0xffff
.LBB1_3:                                ; =>This Inner Loop Header: Depth=1
	global_store_b32 v2, v1, s[2:3] scale_offset
	s_wait_xcnt 0x0
	v_add_nc_u32_e32 v2, s11, v2
	s_delay_alu instid0(VALU_DEP_1) | instskip(SKIP_1) | instid1(SALU_CYCLE_1)
	v_cmp_le_i32_e32 vcc_lo, s8, v2
	s_or_b32 s12, vcc_lo, s12
	s_and_not1_b32 exec_lo, exec_lo, s12
	s_cbranch_execnz .LBB1_3
.LBB1_4:
	s_or_b32 exec_lo, exec_lo, s10
	s_mov_b32 s2, 0
.LBB1_5:
	s_delay_alu instid0(SALU_CYCLE_1)
	s_and_not1_b32 vcc_lo, exec_lo, s2
	s_cbranch_vccnz .LBB1_69
; %bb.6:
	s_mul_f32 s2, s9, 0x4f7ffffe
	s_sub_co_i32 s3, 0, s18
	s_add_co_i32 s20, s7, -1
	v_lshrrev_b32_e32 v7, 5, v0
	s_cvt_u32_f32 s2, s2
	s_add_co_i32 s21, s20, s8
	s_delay_alu instid0(SALU_CYCLE_1) | instskip(NEXT) | instid1(SALU_CYCLE_1)
	s_abs_i32 s12, s21
	s_mul_i32 s3, s3, s2
	s_delay_alu instid0(SALU_CYCLE_1) | instskip(NEXT) | instid1(SALU_CYCLE_1)
	s_mul_hi_u32 s3, s2, s3
	s_add_co_i32 s14, s2, s3
	s_cmp_lt_i32 s6, 1
	s_cbranch_scc1 .LBB1_41
; %bb.7:
	v_mul_lo_u32 v8, s6, v7
	s_cmp_eq_u32 s6, 1
	s_cbranch_scc1 .LBB1_27
; %bb.8:
	s_add_co_i32 s2, s6, -2
	s_mov_b32 s9, 1
	s_lshr_b32 s3, s2, 1
	s_delay_alu instid0(SALU_CYCLE_1)
	s_add_co_i32 s3, s3, 1
	s_cmp_lt_u32 s2, 6
	s_cbranch_scc1 .LBB1_28
; %bb.9:
	s_delay_alu instid0(VALU_DEP_1) | instskip(SKIP_2) | instid1(VALU_DEP_2)
	v_dual_add_nc_u32 v2, 2, v8 :: v_dual_add_nc_u32 v4, 4, v8
	v_dual_mov_b32 v9, 0 :: v_dual_add_nc_u32 v6, 6, v8
	s_and_b32 s10, s3, -4
	v_dual_mov_b32 v1, v2 :: v_dual_mov_b32 v3, v4
	s_delay_alu instid0(VALU_DEP_2)
	v_mov_b32_e32 v5, v6
	s_mov_b32 s8, 0
	s_branch .LBB1_11
.LBB1_10:                               ;   in Loop: Header=BB1_11 Depth=1
	s_or_b32 exec_lo, exec_lo, s2
	s_add_co_i32 s10, s10, -4
	s_add_co_i32 s9, s9, 8
	s_add_co_i32 s8, s8, 8
	s_cmp_lg_u32 s10, 0
	s_cbranch_scc0 .LBB1_29
.LBB1_11:                               ; =>This Inner Loop Header: Depth=1
	v_dual_add_nc_u32 v10, s9, v8 :: v_dual_add_nc_u32 v11, s8, v8
	s_mov_b32 s11, exec_lo
	s_delay_alu instid0(VALU_DEP_1) | instskip(NEXT) | instid1(VALU_DEP_2)
	v_cmp_gt_i32_e32 vcc_lo, s5, v10
	v_cmpx_gt_i32_e64 s5, v11
; %bb.12:                               ;   in Loop: Header=BB1_11 Depth=1
	v_lshl_add_u32 v11, v11, 2, 0x1080
	ds_store_b32 v11, v9
; %bb.13:                               ;   in Loop: Header=BB1_11 Depth=1
	s_or_b32 exec_lo, exec_lo, s11
	s_and_saveexec_b32 s2, vcc_lo
; %bb.14:                               ;   in Loop: Header=BB1_11 Depth=1
	v_lshl_add_u32 v10, v10, 2, 0x1080
	ds_store_b32 v10, v9
; %bb.15:                               ;   in Loop: Header=BB1_11 Depth=1
	s_or_b32 exec_lo, exec_lo, s2
	v_dual_add_nc_u32 v10, s9, v1 :: v_dual_add_nc_u32 v11, s8, v2
	s_mov_b32 s11, exec_lo
	s_delay_alu instid0(VALU_DEP_1) | instskip(NEXT) | instid1(VALU_DEP_2)
	v_cmp_gt_i32_e32 vcc_lo, s5, v10
	v_cmpx_gt_i32_e64 s5, v11
; %bb.16:                               ;   in Loop: Header=BB1_11 Depth=1
	v_lshl_add_u32 v11, v11, 2, 0x1080
	ds_store_b32 v11, v9
; %bb.17:                               ;   in Loop: Header=BB1_11 Depth=1
	s_or_b32 exec_lo, exec_lo, s11
	s_and_saveexec_b32 s2, vcc_lo
; %bb.18:                               ;   in Loop: Header=BB1_11 Depth=1
	v_lshl_add_u32 v10, v10, 2, 0x1080
	ds_store_b32 v10, v9
; %bb.19:                               ;   in Loop: Header=BB1_11 Depth=1
	s_or_b32 exec_lo, exec_lo, s2
	v_dual_add_nc_u32 v10, s9, v3 :: v_dual_add_nc_u32 v11, s8, v4
	s_mov_b32 s11, exec_lo
	s_delay_alu instid0(VALU_DEP_1) | instskip(NEXT) | instid1(VALU_DEP_2)
	v_cmp_gt_i32_e32 vcc_lo, s5, v10
	v_cmpx_gt_i32_e64 s5, v11
; %bb.20:                               ;   in Loop: Header=BB1_11 Depth=1
	v_lshl_add_u32 v11, v11, 2, 0x1080
	ds_store_b32 v11, v9
; %bb.21:                               ;   in Loop: Header=BB1_11 Depth=1
	s_or_b32 exec_lo, exec_lo, s11
	s_and_saveexec_b32 s2, vcc_lo
; %bb.22:                               ;   in Loop: Header=BB1_11 Depth=1
	v_lshl_add_u32 v10, v10, 2, 0x1080
	ds_store_b32 v10, v9
; %bb.23:                               ;   in Loop: Header=BB1_11 Depth=1
	s_or_b32 exec_lo, exec_lo, s2
	v_dual_add_nc_u32 v10, s9, v5 :: v_dual_add_nc_u32 v11, s8, v6
	s_mov_b32 s11, exec_lo
	s_delay_alu instid0(VALU_DEP_1) | instskip(NEXT) | instid1(VALU_DEP_2)
	v_cmp_gt_i32_e32 vcc_lo, s5, v10
	v_cmpx_gt_i32_e64 s5, v11
; %bb.24:                               ;   in Loop: Header=BB1_11 Depth=1
	v_lshl_add_u32 v11, v11, 2, 0x1080
	ds_store_b32 v11, v9
; %bb.25:                               ;   in Loop: Header=BB1_11 Depth=1
	s_or_b32 exec_lo, exec_lo, s11
	s_and_saveexec_b32 s2, vcc_lo
	s_cbranch_execz .LBB1_10
; %bb.26:                               ;   in Loop: Header=BB1_11 Depth=1
	v_lshl_add_u32 v10, v10, 2, 0x1080
	ds_store_b32 v10, v9
	s_branch .LBB1_10
.LBB1_27:
	s_mov_b32 s2, 0
	s_cbranch_execnz .LBB1_37
	s_branch .LBB1_41
.LBB1_28:
	s_mov_b64 s[8:9], 0x100000000
.LBB1_29:
	s_and_b32 s3, s3, 3
	s_delay_alu instid0(SALU_CYCLE_1)
	s_cmp_eq_u32 s3, 0
	s_cbranch_scc1 .LBB1_36
; %bb.30:
	v_mov_b32_e32 v1, 0
	s_branch .LBB1_32
.LBB1_31:                               ;   in Loop: Header=BB1_32 Depth=1
	s_or_b32 exec_lo, exec_lo, s2
	s_add_co_i32 s3, s3, -1
	s_add_co_i32 s9, s9, 2
	s_add_co_i32 s8, s8, 2
	s_cmp_lg_u32 s3, 0
	s_cbranch_scc0 .LBB1_36
.LBB1_32:                               ; =>This Inner Loop Header: Depth=1
	v_dual_add_nc_u32 v2, s9, v8 :: v_dual_add_nc_u32 v3, s8, v8
	s_mov_b32 s10, exec_lo
	s_delay_alu instid0(VALU_DEP_1) | instskip(NEXT) | instid1(VALU_DEP_2)
	v_cmp_gt_i32_e32 vcc_lo, s5, v2
	v_cmpx_gt_i32_e64 s5, v3
; %bb.33:                               ;   in Loop: Header=BB1_32 Depth=1
	v_lshl_add_u32 v3, v3, 2, 0x1080
	ds_store_b32 v3, v1
; %bb.34:                               ;   in Loop: Header=BB1_32 Depth=1
	s_or_b32 exec_lo, exec_lo, s10
	s_and_saveexec_b32 s2, vcc_lo
	s_cbranch_execz .LBB1_31
; %bb.35:                               ;   in Loop: Header=BB1_32 Depth=1
	v_lshl_add_u32 v2, v2, 2, 0x1080
	ds_store_b32 v2, v1
	s_branch .LBB1_31
.LBB1_36:
	s_and_b32 s2, s6, 0x7ffffffe
	s_delay_alu instid0(SALU_CYCLE_1) | instskip(SKIP_1) | instid1(SALU_CYCLE_1)
	s_cmp_lg_u32 s6, s2
	s_cselect_b32 s3, -1, 0
	s_and_b32 vcc_lo, exec_lo, s3
	s_cbranch_vccz .LBB1_41
.LBB1_37:
	s_delay_alu instid0(VALU_DEP_1) | instskip(SKIP_1) | instid1(VALU_DEP_1)
	v_dual_add_nc_u32 v1, s2, v8 :: v_dual_mov_b32 v3, 0
	s_sub_co_i32 s2, s6, s2
	v_lshl_add_u32 v2, v1, 2, 0x1080
	s_branch .LBB1_39
.LBB1_38:                               ;   in Loop: Header=BB1_39 Depth=1
	s_or_b32 exec_lo, exec_lo, s3
	v_dual_add_nc_u32 v2, 4, v2 :: v_dual_add_nc_u32 v1, 1, v1
	s_add_co_i32 s2, s2, -1
	s_delay_alu instid0(SALU_CYCLE_1)
	s_cmp_eq_u32 s2, 0
	s_cbranch_scc1 .LBB1_41
.LBB1_39:                               ; =>This Inner Loop Header: Depth=1
	s_mov_b32 s3, exec_lo
	v_cmpx_gt_i32_e64 s5, v1
	s_cbranch_execz .LBB1_38
; %bb.40:                               ;   in Loop: Header=BB1_39 Depth=1
	ds_store_b32 v2, v3
	s_branch .LBB1_38
.LBB1_41:
	s_wait_storecnt_dscnt 0x0
	s_barrier_signal -1
	s_barrier_wait -1
	s_clause 0x2
	s_load_b32 s5, s[0:1], 0x5c
	s_load_b64 s[2:3], s[0:1], 0x40
	s_load_b128 s[8:11], s[0:1], 0x10
	v_lshlrev_b32_e32 v2, 2, v0
	s_mov_b32 s15, s13
	s_mov_b32 s6, exec_lo
	s_wait_kmcnt 0x0
	s_and_b32 s5, s5, 0xffff
	v_cmpx_gt_i32_e64 s19, v0
	s_cbranch_execz .LBB1_49
; %bb.42:
	s_clause 0x1
	s_load_b64 s[16:17], s[0:1], 0x20
	s_load_b64 s[24:25], s[0:1], 0x0
	v_dual_mov_b32 v3, 0 :: v_dual_mov_b32 v1, 1
	s_wait_xcnt 0x0
	s_mov_b32 s1, 0
	s_wait_kmcnt 0x0
	s_cmp_eq_u64 s[16:17], 0
	v_add_nc_u64_e32 v[4:5], s[24:25], v[2:3]
	v_mov_b32_e32 v3, v0
	s_cselect_b32 s22, -1, 0
	s_cmp_lg_u64 s[16:17], 0
	s_mov_b32 s24, s1
	s_cselect_b32 s23, -1, 0
	s_lshl_b32 s0, s5, 2
	s_branch .LBB1_44
.LBB1_43:                               ;   in Loop: Header=BB1_44 Depth=1
	s_or_b32 exec_lo, exec_lo, s25
	v_add_nc_u32_e32 v3, s5, v3
	v_add_nc_u64_e32 v[4:5], s[0:1], v[4:5]
	s_delay_alu instid0(VALU_DEP_2) | instskip(SKIP_1) | instid1(SALU_CYCLE_1)
	v_cmp_le_i32_e32 vcc_lo, s19, v3
	s_or_b32 s24, vcc_lo, s24
	s_and_not1_b32 exec_lo, exec_lo, s24
	s_cbranch_execz .LBB1_49
.LBB1_44:                               ; =>This Inner Loop Header: Depth=1
	global_load_b32 v6, v[4:5], off
	s_mov_b32 s25, exec_lo
	s_wait_loadcnt 0x0
	s_wait_xcnt 0x0
	v_cmpx_gt_i32_e64 s4, v6
	s_cbranch_execz .LBB1_43
; %bb.45:                               ;   in Loop: Header=BB1_44 Depth=1
	s_and_not1_b32 vcc_lo, exec_lo, s23
	s_cbranch_vccnz .LBB1_47
; %bb.46:                               ;   in Loop: Header=BB1_44 Depth=1
	global_load_b32 v6, v6, s[16:17] scale_offset
	s_and_not1_b32 s26, s22, exec_lo
	s_wait_loadcnt 0x0
	v_cmp_ne_u32_e32 vcc_lo, -1, v6
	s_and_b32 s27, vcc_lo, exec_lo
	s_delay_alu instid0(SALU_CYCLE_1)
	s_or_b32 s26, s26, s27
	s_wait_xcnt 0x0
	s_and_b32 exec_lo, exec_lo, s26
	s_cbranch_execz .LBB1_43
	s_branch .LBB1_48
.LBB1_47:                               ;   in Loop: Header=BB1_44 Depth=1
	s_mov_b32 s26, s22
	s_delay_alu instid0(SALU_CYCLE_1)
	s_and_b32 exec_lo, exec_lo, s26
	s_cbranch_execz .LBB1_43
.LBB1_48:                               ;   in Loop: Header=BB1_44 Depth=1
	v_lshl_add_u32 v6, v6, 2, 0x1080
	ds_add_u32 v6, v1
	s_branch .LBB1_43
.LBB1_49:
	s_or_b32 exec_lo, exec_lo, s6
	v_mov_b32_e32 v1, 0
	s_mul_u64 s[0:1], s[12:13], s[14:15]
	s_ashr_i32 s16, s21, 31
	s_ashr_i32 s6, s7, 31
	s_mov_b32 s0, exec_lo
	s_wait_dscnt 0x0
	s_barrier_signal -1
	s_barrier_wait -1
	v_cmpx_gt_i32_e64 s4, v0
	s_cbranch_execz .LBB1_51
; %bb.50:
	v_lshl_add_u32 v1, v0, 2, 0x1080
	v_mov_b32_e32 v5, 0
	ds_load_b32 v1, v1
	s_wait_dscnt 0x0
	v_add_nc_u32_e32 v1, s20, v1
	s_delay_alu instid0(VALU_DEP_1) | instskip(NEXT) | instid1(VALU_DEP_1)
	v_sub_nc_u32_e32 v3, 0, v1
	v_max_i32_e32 v4, v1, v3
	s_delay_alu instid0(VALU_DEP_1) | instskip(SKIP_1) | instid1(VALU_DEP_2)
	v_mul_u64_e32 v[8:9], s[14:15], v[4:5]
	v_ashrrev_i32_e32 v5, 31, v1
	v_mul_lo_u32 v3, v9, s18
	s_delay_alu instid0(VALU_DEP_1) | instskip(NEXT) | instid1(VALU_DEP_1)
	v_sub_nc_u32_e32 v3, v4, v3
	v_subrev_nc_u32_e32 v4, s18, v3
	v_cmp_le_u32_e32 vcc_lo, s18, v3
	s_delay_alu instid0(VALU_DEP_2) | instskip(NEXT) | instid1(VALU_DEP_1)
	v_cndmask_b32_e32 v3, v3, v4, vcc_lo
	v_subrev_nc_u32_e32 v4, s18, v3
	v_cmp_le_u32_e32 vcc_lo, s18, v3
	s_delay_alu instid0(VALU_DEP_2) | instskip(NEXT) | instid1(VALU_DEP_1)
	v_cndmask_b32_e32 v3, v3, v4, vcc_lo
	v_xor_b32_e32 v3, v3, v5
	s_delay_alu instid0(VALU_DEP_1) | instskip(NEXT) | instid1(VALU_DEP_1)
	v_sub_nc_u32_e32 v3, v5, v3
	v_add_nc_u32_e32 v1, v1, v3
.LBB1_51:
	s_or_b32 exec_lo, exec_lo, s0
	v_lshl_add_u32 v3, v7, 2, v2
	s_mov_b32 s0, exec_lo
	ds_store_b32 v3, v1
	s_wait_dscnt 0x0
	s_barrier_signal -1
	s_barrier_wait -1
	v_cmpx_gt_u32_e32 32, v0
	s_cbranch_execz .LBB1_53
; %bb.52:
	v_mul_u32_u24_e32 v3, 0x84, v0
	ds_load_2addr_b32 v[4:5], v3 offset1:1
	ds_load_2addr_b32 v[6:7], v3 offset0:2 offset1:3
	ds_load_2addr_b32 v[8:9], v3 offset0:4 offset1:5
	ds_load_2addr_b32 v[10:11], v3 offset0:6 offset1:7
	ds_load_2addr_b32 v[12:13], v3 offset0:8 offset1:9
	ds_load_2addr_b32 v[14:15], v3 offset0:10 offset1:11
	s_wait_dscnt 0x5
	v_add_nc_u32_e32 v5, v5, v4
	s_wait_dscnt 0x4
	s_delay_alu instid0(VALU_DEP_1)
	v_add3_u32 v5, v5, v6, v7
	ds_load_2addr_b32 v[6:7], v3 offset0:12 offset1:13
	s_wait_dscnt 0x4
	v_add3_u32 v5, v5, v8, v9
	ds_load_2addr_b32 v[8:9], v3 offset0:14 offset1:15
	s_wait_dscnt 0x4
	;; [unrolled: 3-line block ×3, first 2 shown]
	v_add3_u32 v5, v5, v12, v13
	s_wait_dscnt 0x3
	s_delay_alu instid0(VALU_DEP_1)
	v_add3_u32 v5, v5, v14, v15
	ds_load_2addr_b32 v[12:13], v3 offset0:18 offset1:19
	ds_load_2addr_b32 v[14:15], v3 offset0:20 offset1:21
	s_wait_dscnt 0x4
	v_add3_u32 v5, v5, v6, v7
	ds_load_2addr_b32 v[6:7], v3 offset0:22 offset1:23
	s_wait_dscnt 0x4
	v_add3_u32 v5, v5, v8, v9
	;; [unrolled: 3-line block ×4, first 2 shown]
	s_wait_dscnt 0x3
	s_delay_alu instid0(VALU_DEP_1)
	v_add3_u32 v5, v5, v14, v15
	ds_load_2addr_b32 v[12:13], v3 offset0:28 offset1:29
	ds_load_2addr_b32 v[14:15], v3 offset0:30 offset1:31
	; wave barrier
	s_wait_dscnt 0x4
	v_add3_u32 v5, v5, v6, v7
	v_mbcnt_lo_u32_b32 v6, -1, 0
	s_wait_dscnt 0x3
	s_delay_alu instid0(VALU_DEP_2) | instskip(NEXT) | instid1(VALU_DEP_2)
	v_add3_u32 v5, v5, v8, v9
	v_and_b32_e32 v7, 15, v6
	v_bfe_i32 v9, v6, 4, 1
	s_wait_dscnt 0x2
	s_delay_alu instid0(VALU_DEP_3) | instskip(NEXT) | instid1(VALU_DEP_3)
	v_add3_u32 v5, v5, v10, v11
	v_cmp_ne_u32_e32 vcc_lo, 0, v7
	s_wait_dscnt 0x1
	s_delay_alu instid0(VALU_DEP_2) | instskip(SKIP_1) | instid1(VALU_DEP_1)
	v_add3_u32 v5, v5, v12, v13
	s_wait_dscnt 0x0
	v_add3_u32 v5, v5, v14, v15
	s_delay_alu instid0(VALU_DEP_1) | instskip(NEXT) | instid1(VALU_DEP_1)
	v_mov_b32_dpp v8, v5 row_shr:1 row_mask:0xf bank_mask:0xf
	v_cndmask_b32_e32 v8, 0, v8, vcc_lo
	v_cmp_lt_u32_e32 vcc_lo, 1, v7
	s_delay_alu instid0(VALU_DEP_2) | instskip(NEXT) | instid1(VALU_DEP_1)
	v_add_nc_u32_e32 v5, v8, v5
	v_mov_b32_dpp v8, v5 row_shr:2 row_mask:0xf bank_mask:0xf
	s_delay_alu instid0(VALU_DEP_1) | instskip(SKIP_1) | instid1(VALU_DEP_2)
	v_cndmask_b32_e32 v8, 0, v8, vcc_lo
	v_cmp_lt_u32_e32 vcc_lo, 3, v7
	v_add_nc_u32_e32 v5, v5, v8
	s_delay_alu instid0(VALU_DEP_1) | instskip(NEXT) | instid1(VALU_DEP_1)
	v_mov_b32_dpp v8, v5 row_shr:4 row_mask:0xf bank_mask:0xf
	v_cndmask_b32_e32 v8, 0, v8, vcc_lo
	v_cmp_lt_u32_e32 vcc_lo, 7, v7
	s_delay_alu instid0(VALU_DEP_2) | instskip(NEXT) | instid1(VALU_DEP_1)
	v_add_nc_u32_e32 v5, v5, v8
	v_mov_b32_dpp v8, v5 row_shr:8 row_mask:0xf bank_mask:0xf
	s_delay_alu instid0(VALU_DEP_1) | instskip(NEXT) | instid1(VALU_DEP_1)
	v_cndmask_b32_e32 v7, 0, v8, vcc_lo
	v_add_nc_u32_e32 v5, v5, v7
	ds_swizzle_b32 v7, v5 offset:swizzle(BROADCAST,32,15)
	s_wait_dscnt 0x0
	v_dual_add_nc_u32 v8, -1, v6 :: v_dual_bitop2_b32 v7, v9, v7 bitop3:0x40
	s_delay_alu instid0(VALU_DEP_1) | instskip(NEXT) | instid1(VALU_DEP_2)
	v_cmp_gt_i32_e32 vcc_lo, 0, v8
	v_dual_cndmask_b32 v6, v8, v6 :: v_dual_add_nc_u32 v5, v5, v7
	v_cmp_eq_u32_e32 vcc_lo, 0, v0
	s_delay_alu instid0(VALU_DEP_2) | instskip(SKIP_3) | instid1(VALU_DEP_1)
	v_lshlrev_b32_e32 v6, 2, v6
	ds_bpermute_b32 v5, v6, v5
	s_wait_dscnt 0x0
	v_add_nc_u32_e32 v4, v5, v4
	v_cndmask_b32_e32 v1, v4, v1, vcc_lo
	ds_store_b32 v3, v1
	; wave barrier
	ds_load_2addr_b32 v[4:5], v3 offset0:1 offset1:2
	ds_load_2addr_b32 v[6:7], v3 offset0:3 offset1:4
	;; [unrolled: 1-line block ×4, first 2 shown]
	s_wait_dscnt 0x3
	v_add_nc_u32_e32 v1, v4, v1
	s_delay_alu instid0(VALU_DEP_1) | instskip(SKIP_3) | instid1(VALU_DEP_1)
	v_add_nc_u32_e32 v12, v5, v1
	ds_load_2addr_b32 v[4:5], v3 offset0:9 offset1:10
	s_wait_dscnt 0x3
	v_add_nc_u32_e32 v13, v6, v12
	v_add_nc_u32_e32 v14, v7, v13
	ds_load_2addr_b32 v[6:7], v3 offset0:11 offset1:12
	s_wait_dscnt 0x3
	v_add_nc_u32_e32 v15, v8, v14
	s_delay_alu instid0(VALU_DEP_1) | instskip(SKIP_1) | instid1(VALU_DEP_1)
	v_add_nc_u32_e32 v16, v9, v15
	s_wait_dscnt 0x2
	v_add_nc_u32_e32 v17, v10, v16
	s_delay_alu instid0(VALU_DEP_1) | instskip(SKIP_4) | instid1(VALU_DEP_1)
	v_add_nc_u32_e32 v18, v11, v17
	ds_load_2addr_b32 v[8:9], v3 offset0:13 offset1:14
	ds_load_2addr_b32 v[10:11], v3 offset0:15 offset1:16
	s_wait_dscnt 0x3
	v_add_nc_u32_e32 v19, v4, v18
	v_add_nc_u32_e32 v20, v5, v19
	ds_load_2addr_b32 v[4:5], v3 offset0:17 offset1:18
	s_wait_dscnt 0x3
	v_add_nc_u32_e32 v21, v6, v20
	s_delay_alu instid0(VALU_DEP_1) | instskip(SKIP_3) | instid1(VALU_DEP_1)
	v_add_nc_u32_e32 v22, v7, v21
	ds_load_2addr_b32 v[6:7], v3 offset0:19 offset1:20
	s_wait_dscnt 0x3
	v_add_nc_u32_e32 v23, v8, v22
	v_add_nc_u32_e32 v24, v9, v23
	s_wait_dscnt 0x2
	s_delay_alu instid0(VALU_DEP_1) | instskip(NEXT) | instid1(VALU_DEP_1)
	v_add_nc_u32_e32 v25, v10, v24
	v_add_nc_u32_e32 v26, v11, v25
	ds_load_2addr_b32 v[8:9], v3 offset0:21 offset1:22
	ds_load_2addr_b32 v[10:11], v3 offset0:23 offset1:24
	s_wait_dscnt 0x3
	v_add_nc_u32_e32 v27, v4, v26
	s_delay_alu instid0(VALU_DEP_1) | instskip(SKIP_3) | instid1(VALU_DEP_1)
	v_add_nc_u32_e32 v28, v5, v27
	ds_load_2addr_b32 v[4:5], v3 offset0:25 offset1:26
	s_wait_dscnt 0x3
	v_add_nc_u32_e32 v29, v6, v28
	v_add_nc_u32_e32 v30, v7, v29
	ds_load_2addr_b32 v[6:7], v3 offset0:27 offset1:28
	s_wait_dscnt 0x3
	v_add_nc_u32_e32 v31, v8, v30
	s_delay_alu instid0(VALU_DEP_1)
	v_add_nc_u32_e32 v32, v9, v31
	ds_load_2addr_b32 v[8:9], v3 offset0:29 offset1:30
	ds_load_b32 v33, v3 offset:124
	ds_store_2addr_b32 v3, v1, v12 offset0:1 offset1:2
	ds_store_2addr_b32 v3, v13, v14 offset0:3 offset1:4
	;; [unrolled: 1-line block ×8, first 2 shown]
	s_wait_dscnt 0xc
	v_add_nc_u32_e32 v10, v10, v32
	s_delay_alu instid0(VALU_DEP_1) | instskip(SKIP_1) | instid1(VALU_DEP_1)
	v_add_nc_u32_e32 v11, v11, v10
	s_wait_dscnt 0xb
	v_add_nc_u32_e32 v4, v4, v11
	s_delay_alu instid0(VALU_DEP_1) | instskip(SKIP_1) | instid1(VALU_DEP_1)
	v_add_nc_u32_e32 v5, v5, v4
	s_wait_dscnt 0xa
	v_add_nc_u32_e32 v6, v6, v5
	s_delay_alu instid0(VALU_DEP_1) | instskip(SKIP_1) | instid1(VALU_DEP_1)
	v_add_nc_u32_e32 v7, v7, v6
	s_wait_dscnt 0x9
	v_add_nc_u32_e32 v8, v8, v7
	s_delay_alu instid0(VALU_DEP_1) | instskip(SKIP_1) | instid1(VALU_DEP_1)
	v_add_nc_u32_e32 v1, v9, v8
	s_wait_dscnt 0x8
	v_add_nc_u32_e32 v9, v33, v1
	ds_store_2addr_b32 v3, v27, v28 offset0:17 offset1:18
	ds_store_2addr_b32 v3, v29, v30 offset0:19 offset1:20
	;; [unrolled: 1-line block ×7, first 2 shown]
	ds_store_b32 v3, v9 offset:124
.LBB1_53:
	s_or_b32 exec_lo, exec_lo, s0
	v_mov_b32_e32 v1, 0
	s_mov_b32 s0, exec_lo
	s_wait_dscnt 0x0
	s_barrier_signal -1
	s_barrier_wait -1
	v_cmpx_ne_u32_e32 0, v0
	s_cbranch_execnz .LBB1_70
; %bb.54:
	s_or_b32 exec_lo, exec_lo, s0
	s_delay_alu instid0(SALU_CYCLE_1)
	s_mov_b32 s0, exec_lo
	v_cmpx_ge_i32_e64 s4, v0
	s_cbranch_execnz .LBB1_71
.LBB1_55:
	s_or_b32 exec_lo, exec_lo, s0
	s_delay_alu instid0(SALU_CYCLE_1)
	s_mov_b32 s0, exec_lo
	v_cmpx_eq_u32_e64 s4, v0
	s_cbranch_execz .LBB1_57
.LBB1_56:
	v_mov_b32_e32 v3, 0
	s_wait_dscnt 0x0
	global_store_b32 v3, v1, s[10:11]
.LBB1_57:
	s_wait_xcnt 0x0
	s_or_b32 exec_lo, exec_lo, s0
	s_delay_alu instid0(SALU_CYCLE_1)
	s_mov_b32 s10, exec_lo
	s_wait_storecnt_dscnt 0x0
	s_barrier_signal -1
	s_barrier_wait -1
	v_cmpx_gt_u32_e64 s4, v0
	s_cbranch_execz .LBB1_66
; %bb.58:
	global_load_b64 v[2:3], v2, s[2:3]
	s_wait_loadcnt 0x0
	v_cmp_lt_i32_e32 vcc_lo, v2, v3
	s_and_b32 exec_lo, exec_lo, vcc_lo
	s_cbranch_execz .LBB1_66
; %bb.59:
	s_cvt_f32_u32 s0, s7
	v_add_nc_u32_e32 v1, s7, v2
	s_sub_co_i32 s11, 0, s7
	s_mov_b32 s13, 0
	v_rcp_iflag_f32_e32 v4, s0
	s_delay_alu instid0(VALU_DEP_1) | instskip(SKIP_1) | instid1(TRANS32_DEP_1)
	v_cmp_lt_i32_e32 vcc_lo, v1, v3
	v_add_co_ci_u32_e64 v5, null, s7, v2, vcc_lo
	v_readfirstlane_b32 s0, v4
	v_max_i32_e32 v4, v3, v1
	s_mul_f32 s0, s0, 0x4f7ffffe
	s_delay_alu instid0(VALU_DEP_1) | instskip(NEXT) | instid1(SALU_CYCLE_2)
	v_sub_nc_u32_e32 v4, v4, v5
	s_cvt_u32_f32 s0, s0
	s_delay_alu instid0(SALU_CYCLE_3) | instskip(NEXT) | instid1(SALU_CYCLE_1)
	s_mul_i32 s11, s11, s0
	s_mul_hi_u32 s11, s0, s11
	s_delay_alu instid0(SALU_CYCLE_1) | instskip(SKIP_2) | instid1(VALU_DEP_1)
	s_add_co_i32 s0, s0, s11
	s_mov_b32 s11, exec_lo
	v_mul_hi_u32 v5, v4, s0
	v_mul_lo_u32 v6, v5, s7
	s_delay_alu instid0(VALU_DEP_1) | instskip(NEXT) | instid1(VALU_DEP_1)
	v_dual_sub_nc_u32 v4, v4, v6 :: v_dual_add_nc_u32 v6, 1, v5
	v_subrev_nc_u32_e32 v7, s7, v4
	v_cmp_le_u32_e64 s0, s7, v4
	s_delay_alu instid0(VALU_DEP_1) | instskip(NEXT) | instid1(VALU_DEP_1)
	v_dual_cndmask_b32 v5, v5, v6, s0 :: v_dual_cndmask_b32 v4, v4, v7, s0
	v_add_nc_u32_e32 v6, 1, v5
	s_delay_alu instid0(VALU_DEP_2) | instskip(NEXT) | instid1(VALU_DEP_1)
	v_cmp_le_u32_e64 s0, s7, v4
	v_cndmask_b32_e64 v4, v5, v6, s0
	s_mov_b32 s0, -1
	s_delay_alu instid0(VALU_DEP_1) | instskip(NEXT) | instid1(VALU_DEP_1)
	v_add_co_ci_u32_e64 v5, null, 1, v4, vcc_lo
	v_cmpx_lt_u32_e32 1, v5
	s_cbranch_execz .LBB1_63
; %bb.60:
	v_dual_mov_b32 v4, v2 :: v_dual_bitop2_b32 v8, -2, v5 bitop3:0x40
	v_mov_b32_e32 v7, 0
	s_lshl_b32 s17, s7, 1
	s_delay_alu instid0(SALU_CYCLE_1) | instskip(NEXT) | instid1(VALU_DEP_2)
	s_mov_b32 s19, s17
	v_mov_b32_e32 v9, v8
.LBB1_61:                               ; =>This Inner Loop Header: Depth=1
	v_dual_sub_nc_u32 v6, 0, v4 :: v_dual_sub_nc_u32 v12, 0, v1
	s_delay_alu instid0(VALU_DEP_2) | instskip(NEXT) | instid1(VALU_DEP_2)
	v_dual_ashrrev_i32 v14, 31, v4 :: v_dual_add_nc_u32 v9, -2, v9
	v_dual_add_nc_u32 v4, s17, v4 :: v_dual_max_i32 v6, v4, v6
	s_delay_alu instid0(VALU_DEP_1) | instskip(NEXT) | instid1(VALU_DEP_1)
	v_mul_u64_e32 v[10:11], s[14:15], v[6:7]
	v_dual_ashrrev_i32 v15, 31, v1 :: v_dual_add_nc_u32 v16, 1, v11
	v_mul_lo_u32 v10, v11, s18
	s_delay_alu instid0(VALU_DEP_1) | instskip(SKIP_1) | instid1(VALU_DEP_2)
	v_dual_sub_nc_u32 v10, v6, v10 :: v_dual_bitop2_b32 v15, s6, v15 bitop3:0x14
	v_dual_add_nc_u32 v1, s19, v1 :: v_dual_max_i32 v6, v1, v12
	v_cmp_le_u32_e32 vcc_lo, s18, v10
	s_delay_alu instid0(VALU_DEP_2) | instskip(NEXT) | instid1(VALU_DEP_1)
	v_mul_u64_e32 v[12:13], s[14:15], v[6:7]
	v_mul_lo_u32 v12, v13, s18
	s_delay_alu instid0(VALU_DEP_1) | instskip(SKIP_2) | instid1(VALU_DEP_3)
	v_dual_add_nc_u32 v17, 1, v13 :: v_dual_sub_nc_u32 v6, v6, v12
	v_subrev_nc_u32_e32 v12, s18, v10
	v_xor_b32_e32 v14, s6, v14
	v_cmp_le_u32_e64 s0, s18, v6
	v_cndmask_b32_e32 v11, v11, v16, vcc_lo
	v_subrev_nc_u32_e32 v16, s18, v6
	s_delay_alu instid0(VALU_DEP_3) | instskip(NEXT) | instid1(VALU_DEP_2)
	v_dual_cndmask_b32 v10, v10, v12, vcc_lo :: v_dual_cndmask_b32 v13, v13, v17, s0
	v_dual_add_nc_u32 v12, 1, v11 :: v_dual_cndmask_b32 v6, v6, v16, s0
	s_delay_alu instid0(VALU_DEP_2) | instskip(NEXT) | instid1(VALU_DEP_2)
	v_cmp_le_u32_e32 vcc_lo, s18, v10
	v_dual_add_nc_u32 v16, 1, v13 :: v_dual_cndmask_b32 v10, v11, v12, vcc_lo
	s_delay_alu instid0(VALU_DEP_3) | instskip(NEXT) | instid1(VALU_DEP_2)
	v_cmp_le_u32_e32 vcc_lo, s18, v6
	v_dual_cndmask_b32 v6, v13, v16, vcc_lo :: v_dual_bitop2_b32 v10, v10, v14 bitop3:0x14
	v_cmp_eq_u32_e32 vcc_lo, 0, v9
	s_delay_alu instid0(VALU_DEP_2) | instskip(NEXT) | instid1(VALU_DEP_3)
	v_sub_nc_u32_e32 v10, v10, v14
	v_xor_b32_e32 v6, v6, v15
	s_or_b32 s13, vcc_lo, s13
	s_delay_alu instid0(VALU_DEP_1)
	v_sub_nc_u32_e32 v6, v6, v15
	s_clause 0x1
	global_store_b32 v10, v0, s[8:9] scale_offset
	global_store_b32 v6, v0, s[8:9] scale_offset
	s_wait_xcnt 0x0
	s_and_not1_b32 exec_lo, exec_lo, s13
	s_cbranch_execnz .LBB1_61
; %bb.62:
	s_or_b32 exec_lo, exec_lo, s13
	v_mad_u32 v2, v8, s7, v2
	v_cmp_ne_u32_e32 vcc_lo, v5, v8
	s_or_not1_b32 s0, vcc_lo, exec_lo
.LBB1_63:
	s_or_b32 exec_lo, exec_lo, s11
	s_delay_alu instid0(SALU_CYCLE_1)
	s_and_b32 exec_lo, exec_lo, s0
	s_cbranch_execz .LBB1_66
; %bb.64:
	v_mov_b32_e32 v5, 0
	s_mov_b32 s0, 0
.LBB1_65:                               ; =>This Inner Loop Header: Depth=1
	s_delay_alu instid0(VALU_DEP_3) | instskip(NEXT) | instid1(VALU_DEP_1)
	v_sub_nc_u32_e32 v1, 0, v2
	v_max_i32_e32 v4, v2, v1
	s_delay_alu instid0(VALU_DEP_1) | instskip(NEXT) | instid1(VALU_DEP_1)
	v_mul_u64_e32 v[6:7], s[14:15], v[4:5]
	v_mul_lo_u32 v1, v7, s18
	s_delay_alu instid0(VALU_DEP_1) | instskip(NEXT) | instid1(VALU_DEP_1)
	v_dual_add_nc_u32 v6, 1, v7 :: v_dual_sub_nc_u32 v1, v4, v1
	v_cmp_le_u32_e32 vcc_lo, s18, v1
	s_delay_alu instid0(VALU_DEP_2) | instskip(SKIP_2) | instid1(VALU_DEP_1)
	v_cndmask_b32_e32 v6, v7, v6, vcc_lo
	v_ashrrev_i32_e32 v7, 31, v2
	v_subrev_nc_u32_e32 v4, s18, v1
	v_dual_cndmask_b32 v1, v1, v4 :: v_dual_add_nc_u32 v4, 1, v6
	s_delay_alu instid0(VALU_DEP_1) | instskip(NEXT) | instid1(VALU_DEP_2)
	v_cmp_le_u32_e32 vcc_lo, s18, v1
	v_dual_cndmask_b32 v1, v6, v4, vcc_lo :: v_dual_bitop2_b32 v7, s6, v7 bitop3:0x14
	s_delay_alu instid0(VALU_DEP_1) | instskip(NEXT) | instid1(VALU_DEP_1)
	v_dual_add_nc_u32 v2, s7, v2 :: v_dual_bitop2_b32 v1, v1, v7 bitop3:0x14
	v_cmp_ge_i32_e32 vcc_lo, v2, v3
	s_delay_alu instid0(VALU_DEP_2)
	v_sub_nc_u32_e32 v1, v1, v7
	s_or_b32 s0, vcc_lo, s0
	global_store_b32 v1, v0, s[8:9] scale_offset
	s_wait_xcnt 0x0
	s_and_not1_b32 exec_lo, exec_lo, s0
	s_cbranch_execnz .LBB1_65
.LBB1_66:
	s_or_b32 exec_lo, exec_lo, s10
	v_mov_b32_e32 v1, s4
	s_mul_i32 s0, s1, s18
	s_delay_alu instid0(SALU_CYCLE_1) | instskip(NEXT) | instid1(SALU_CYCLE_1)
	s_sub_co_i32 s0, s12, s0
	s_sub_co_i32 s4, s0, s18
	global_load_b32 v1, v1, s[2:3] scale_offset
	s_wait_xcnt 0x0
	s_xor_b32 s2, s16, s6
	s_add_co_i32 s3, s1, 1
	s_cmp_ge_u32 s0, s18
	s_cselect_b32 s1, s3, s1
	s_cselect_b32 s0, s4, s0
	s_add_co_i32 s3, s1, 1
	s_cmp_ge_u32 s0, s18
	s_cselect_b32 s0, s3, s1
	s_mov_b32 s1, 0
	s_xor_b32 s3, s0, s2
	s_delay_alu instid0(SALU_CYCLE_1)
	s_sub_co_i32 s2, s3, s2
	s_wait_loadcnt 0x0
	v_readfirstlane_b32 s4, v1
	s_abs_i32 s0, s4
	s_ashr_i32 s3, s4, 31
	s_mul_u64 s[10:11], s[0:1], s[14:15]
	s_xor_b32 s3, s3, s6
	s_mul_i32 s4, s11, s18
	s_delay_alu instid0(SALU_CYCLE_1)
	s_sub_co_i32 s0, s0, s4
	s_add_co_i32 s4, s11, 1
	s_sub_co_i32 s6, s0, s18
	s_cmp_ge_u32 s0, s18
	s_cselect_b32 s4, s4, s11
	s_cselect_b32 s0, s6, s0
	s_add_co_i32 s6, s4, 1
	s_cmp_ge_u32 s0, s18
	s_cselect_b32 s0, s6, s4
	s_delay_alu instid0(SALU_CYCLE_1) | instskip(NEXT) | instid1(SALU_CYCLE_1)
	s_xor_b32 s0, s0, s3
	s_sub_co_i32 s0, s0, s3
	s_delay_alu instid0(SALU_CYCLE_1) | instskip(SKIP_1) | instid1(VALU_DEP_1)
	v_add_nc_u32_e32 v0, s0, v0
	s_mov_b32 s0, exec_lo
	v_cmpx_gt_i32_e64 s2, v0
	s_cbranch_execz .LBB1_69
; %bb.67:
	v_mov_b32_e32 v1, 0
.LBB1_68:                               ; =>This Inner Loop Header: Depth=1
	global_store_b32 v0, v1, s[8:9] scale_offset
	s_wait_xcnt 0x0
	v_add_nc_u32_e32 v0, s5, v0
	s_delay_alu instid0(VALU_DEP_1) | instskip(SKIP_1) | instid1(SALU_CYCLE_1)
	v_cmp_le_i32_e32 vcc_lo, s2, v0
	s_or_b32 s1, vcc_lo, s1
	s_and_not1_b32 exec_lo, exec_lo, s1
	s_cbranch_execnz .LBB1_68
.LBB1_69:
	s_endpgm
.LBB1_70:
	v_add_nc_u32_e32 v1, -1, v0
	s_delay_alu instid0(VALU_DEP_1) | instskip(NEXT) | instid1(VALU_DEP_1)
	v_lshrrev_b32_e32 v3, 3, v1
	v_and_b32_e32 v3, 0x1ffffffc, v3
	s_delay_alu instid0(VALU_DEP_1) | instskip(SKIP_2) | instid1(SALU_CYCLE_1)
	v_lshl_add_u32 v1, v1, 2, v3
	ds_load_b32 v1, v1
	s_or_b32 exec_lo, exec_lo, s0
	s_mov_b32 s0, exec_lo
	v_cmpx_ge_i32_e64 s4, v0
	s_cbranch_execz .LBB1_55
.LBB1_71:
	s_wait_dscnt 0x0
	global_store_b32 v0, v1, s[2:3] scale_offset
	s_wait_xcnt 0x0
	s_or_b32 exec_lo, exec_lo, s0
	s_delay_alu instid0(SALU_CYCLE_1)
	s_mov_b32 s0, exec_lo
	v_cmpx_eq_u32_e64 s4, v0
	s_cbranch_execnz .LBB1_56
	s_branch .LBB1_57
	.section	.rodata,"a",@progbits
	.p2align	6, 0x0
	.amdhsa_kernel _Z27moe_align_block_size_kernelIiEvPKT_PiS3_S3_S3_iiiiiS3_ii
		.amdhsa_group_segment_fixed_size 4224
		.amdhsa_private_segment_fixed_size 0
		.amdhsa_kernarg_size 336
		.amdhsa_user_sgpr_count 2
		.amdhsa_user_sgpr_dispatch_ptr 0
		.amdhsa_user_sgpr_queue_ptr 0
		.amdhsa_user_sgpr_kernarg_segment_ptr 1
		.amdhsa_user_sgpr_dispatch_id 0
		.amdhsa_user_sgpr_kernarg_preload_length 0
		.amdhsa_user_sgpr_kernarg_preload_offset 0
		.amdhsa_user_sgpr_private_segment_size 0
		.amdhsa_wavefront_size32 1
		.amdhsa_uses_dynamic_stack 0
		.amdhsa_enable_private_segment 0
		.amdhsa_system_sgpr_workgroup_id_x 1
		.amdhsa_system_sgpr_workgroup_id_y 0
		.amdhsa_system_sgpr_workgroup_id_z 0
		.amdhsa_system_sgpr_workgroup_info 0
		.amdhsa_system_vgpr_workitem_id 0
		.amdhsa_next_free_vgpr 34
		.amdhsa_next_free_sgpr 28
		.amdhsa_named_barrier_count 0
		.amdhsa_reserve_vcc 1
		.amdhsa_float_round_mode_32 0
		.amdhsa_float_round_mode_16_64 0
		.amdhsa_float_denorm_mode_32 3
		.amdhsa_float_denorm_mode_16_64 3
		.amdhsa_fp16_overflow 0
		.amdhsa_memory_ordered 1
		.amdhsa_forward_progress 1
		.amdhsa_inst_pref_size 30
		.amdhsa_round_robin_scheduling 0
		.amdhsa_exception_fp_ieee_invalid_op 0
		.amdhsa_exception_fp_denorm_src 0
		.amdhsa_exception_fp_ieee_div_zero 0
		.amdhsa_exception_fp_ieee_overflow 0
		.amdhsa_exception_fp_ieee_underflow 0
		.amdhsa_exception_fp_ieee_inexact 0
		.amdhsa_exception_int_div_zero 0
	.end_amdhsa_kernel
	.section	.text._Z27moe_align_block_size_kernelIiEvPKT_PiS3_S3_S3_iiiiiS3_ii,"axG",@progbits,_Z27moe_align_block_size_kernelIiEvPKT_PiS3_S3_S3_iiiiiS3_ii,comdat
.Lfunc_end1:
	.size	_Z27moe_align_block_size_kernelIiEvPKT_PiS3_S3_S3_iiiiiS3_ii, .Lfunc_end1-_Z27moe_align_block_size_kernelIiEvPKT_PiS3_S3_S3_iiiiiS3_ii
                                        ; -- End function
	.set _Z27moe_align_block_size_kernelIiEvPKT_PiS3_S3_S3_iiiiiS3_ii.num_vgpr, 34
	.set _Z27moe_align_block_size_kernelIiEvPKT_PiS3_S3_S3_iiiiiS3_ii.num_agpr, 0
	.set _Z27moe_align_block_size_kernelIiEvPKT_PiS3_S3_S3_iiiiiS3_ii.numbered_sgpr, 28
	.set _Z27moe_align_block_size_kernelIiEvPKT_PiS3_S3_S3_iiiiiS3_ii.num_named_barrier, 0
	.set _Z27moe_align_block_size_kernelIiEvPKT_PiS3_S3_S3_iiiiiS3_ii.private_seg_size, 0
	.set _Z27moe_align_block_size_kernelIiEvPKT_PiS3_S3_S3_iiiiiS3_ii.uses_vcc, 1
	.set _Z27moe_align_block_size_kernelIiEvPKT_PiS3_S3_S3_iiiiiS3_ii.uses_flat_scratch, 0
	.set _Z27moe_align_block_size_kernelIiEvPKT_PiS3_S3_S3_iiiiiS3_ii.has_dyn_sized_stack, 0
	.set _Z27moe_align_block_size_kernelIiEvPKT_PiS3_S3_S3_iiiiiS3_ii.has_recursion, 0
	.set _Z27moe_align_block_size_kernelIiEvPKT_PiS3_S3_S3_iiiiiS3_ii.has_indirect_call, 0
	.section	.AMDGPU.csdata,"",@progbits
; Kernel info:
; codeLenInByte = 3832
; TotalNumSgprs: 30
; NumVgprs: 34
; ScratchSize: 0
; MemoryBound: 0
; FloatMode: 240
; IeeeMode: 1
; LDSByteSize: 4224 bytes/workgroup (compile time only)
; SGPRBlocks: 0
; VGPRBlocks: 2
; NumSGPRsForWavesPerEU: 30
; NumVGPRsForWavesPerEU: 34
; NamedBarCnt: 0
; Occupancy: 16
; WaveLimiterHint : 1
; COMPUTE_PGM_RSRC2:SCRATCH_EN: 0
; COMPUTE_PGM_RSRC2:USER_SGPR: 2
; COMPUTE_PGM_RSRC2:TRAP_HANDLER: 0
; COMPUTE_PGM_RSRC2:TGID_X_EN: 1
; COMPUTE_PGM_RSRC2:TGID_Y_EN: 0
; COMPUTE_PGM_RSRC2:TGID_Z_EN: 0
; COMPUTE_PGM_RSRC2:TIDIG_COMP_CNT: 0
	.section	.text._Z35count_and_sort_expert_tokens_kernelIiEvPKT_PiS3_S3_iiii,"axG",@progbits,_Z35count_and_sort_expert_tokens_kernelIiEvPKT_PiS3_S3_iiii,comdat
	.protected	_Z35count_and_sort_expert_tokens_kernelIiEvPKT_PiS3_S3_iiii ; -- Begin function _Z35count_and_sort_expert_tokens_kernelIiEvPKT_PiS3_S3_iiii
	.globl	_Z35count_and_sort_expert_tokens_kernelIiEvPKT_PiS3_S3_iiii
	.p2align	8
	.type	_Z35count_and_sort_expert_tokens_kernelIiEvPKT_PiS3_S3_iiii,@function
_Z35count_and_sort_expert_tokens_kernelIiEvPKT_PiS3_S3_iiii: ; @_Z35count_and_sort_expert_tokens_kernelIiEvPKT_PiS3_S3_iiii
; %bb.0:
	s_clause 0x1
	s_load_b32 s4, s[0:1], 0x3c
	s_load_b64 s[2:3], s[0:1], 0x20
	s_bfe_u32 s5, ttmp6, 0x40010
	s_bfe_u32 s6, ttmp6, 0x40004
	s_add_co_i32 s5, s5, 1
	s_getreg_b32 s7, hwreg(HW_REG_IB_STS2, 6, 4)
	s_mul_i32 s5, ttmp7, s5
	s_mov_b32 s12, 0
	s_add_co_i32 s6, s6, s5
	s_wait_kmcnt 0x0
	s_and_b32 s14, s4, 0xffff
	s_cmp_eq_u32 s7, 0
	s_cselect_b32 s4, ttmp7, s6
	s_delay_alu instid0(SALU_CYCLE_1) | instskip(SKIP_1) | instid1(VALU_DEP_1)
	v_mad_u32 v0, s4, s14, v0
	s_mov_b32 s4, exec_lo
	v_cmpx_gt_i32_e64 s2, v0
	s_cbranch_execz .LBB2_8
; %bb.1:
	s_load_b256 s[4:11], s[0:1], 0x0
	s_wait_xcnt 0x0
	s_add_nc_u64 s[0:1], s[0:1], 48
	v_ashrrev_i32_e32 v1, 31, v0
	s_load_b32 s0, s[0:1], 0x4
	s_wait_kmcnt 0x0
	s_cmp_eq_u64 s[10:11], 0
	s_delay_alu instid0(VALU_DEP_1)
	v_lshl_add_u64 v[2:3], v[0:1], 2, s[4:5]
	s_cselect_b32 s13, -1, 0
	s_cmp_lg_u64 s[10:11], 0
	s_mul_i32 s0, s0, s14
	v_mov_b32_e32 v1, 1
	s_cselect_b32 s14, -1, 0
	s_ashr_i32 s1, s0, 31
	s_delay_alu instid0(SALU_CYCLE_1)
	s_lshl_b64 s[4:5], s[0:1], 2
	s_branch .LBB2_3
.LBB2_2:                                ;   in Loop: Header=BB2_3 Depth=1
	s_wait_xcnt 0x0
	s_or_b32 exec_lo, exec_lo, s1
	v_add_nc_u32_e32 v0, s0, v0
	v_add_nc_u64_e32 v[2:3], s[4:5], v[2:3]
	s_delay_alu instid0(VALU_DEP_2) | instskip(SKIP_1) | instid1(SALU_CYCLE_1)
	v_cmp_le_i32_e32 vcc_lo, s2, v0
	s_or_b32 s12, vcc_lo, s12
	s_and_not1_b32 exec_lo, exec_lo, s12
	s_cbranch_execz .LBB2_8
.LBB2_3:                                ; =>This Inner Loop Header: Depth=1
	global_load_b32 v4, v[2:3], off
	s_mov_b32 s1, exec_lo
	s_wait_loadcnt 0x0
	s_wait_xcnt 0x0
	v_cmpx_gt_i32_e64 s3, v4
	s_cbranch_execz .LBB2_2
; %bb.4:                                ;   in Loop: Header=BB2_3 Depth=1
	s_and_not1_b32 vcc_lo, exec_lo, s14
	s_cbranch_vccnz .LBB2_6
; %bb.5:                                ;   in Loop: Header=BB2_3 Depth=1
	global_load_b32 v4, v4, s[10:11] scale_offset
	s_and_not1_b32 s15, s13, exec_lo
	s_wait_loadcnt 0x0
	v_cmp_ne_u32_e32 vcc_lo, -1, v4
	s_and_b32 s16, vcc_lo, exec_lo
	s_delay_alu instid0(SALU_CYCLE_1)
	s_or_b32 s15, s15, s16
	s_wait_xcnt 0x0
	s_and_b32 exec_lo, exec_lo, s15
	s_cbranch_execz .LBB2_2
	s_branch .LBB2_7
.LBB2_6:                                ;   in Loop: Header=BB2_3 Depth=1
	s_mov_b32 s15, s13
	s_delay_alu instid0(SALU_CYCLE_1)
	s_and_b32 exec_lo, exec_lo, s15
	s_cbranch_execz .LBB2_2
.LBB2_7:                                ;   in Loop: Header=BB2_3 Depth=1
	global_atomic_add_u32 v4, v4, v1, s[8:9] scale_offset th:TH_ATOMIC_RETURN scope:SCOPE_DEV
	s_wait_loadcnt 0x0
	global_store_b32 v4, v0, s[6:7] scale_offset
	s_branch .LBB2_2
.LBB2_8:
	s_endpgm
	.section	.rodata,"a",@progbits
	.p2align	6, 0x0
	.amdhsa_kernel _Z35count_and_sort_expert_tokens_kernelIiEvPKT_PiS3_S3_iiii
		.amdhsa_group_segment_fixed_size 0
		.amdhsa_private_segment_fixed_size 0
		.amdhsa_kernarg_size 304
		.amdhsa_user_sgpr_count 2
		.amdhsa_user_sgpr_dispatch_ptr 0
		.amdhsa_user_sgpr_queue_ptr 0
		.amdhsa_user_sgpr_kernarg_segment_ptr 1
		.amdhsa_user_sgpr_dispatch_id 0
		.amdhsa_user_sgpr_kernarg_preload_length 0
		.amdhsa_user_sgpr_kernarg_preload_offset 0
		.amdhsa_user_sgpr_private_segment_size 0
		.amdhsa_wavefront_size32 1
		.amdhsa_uses_dynamic_stack 0
		.amdhsa_enable_private_segment 0
		.amdhsa_system_sgpr_workgroup_id_x 1
		.amdhsa_system_sgpr_workgroup_id_y 1
		.amdhsa_system_sgpr_workgroup_id_z 0
		.amdhsa_system_sgpr_workgroup_info 0
		.amdhsa_system_vgpr_workitem_id 0
		.amdhsa_next_free_vgpr 5
		.amdhsa_next_free_sgpr 17
		.amdhsa_named_barrier_count 0
		.amdhsa_reserve_vcc 1
		.amdhsa_float_round_mode_32 0
		.amdhsa_float_round_mode_16_64 0
		.amdhsa_float_denorm_mode_32 3
		.amdhsa_float_denorm_mode_16_64 3
		.amdhsa_fp16_overflow 0
		.amdhsa_memory_ordered 1
		.amdhsa_forward_progress 1
		.amdhsa_inst_pref_size 3
		.amdhsa_round_robin_scheduling 0
		.amdhsa_exception_fp_ieee_invalid_op 0
		.amdhsa_exception_fp_denorm_src 0
		.amdhsa_exception_fp_ieee_div_zero 0
		.amdhsa_exception_fp_ieee_overflow 0
		.amdhsa_exception_fp_ieee_underflow 0
		.amdhsa_exception_fp_ieee_inexact 0
		.amdhsa_exception_int_div_zero 0
	.end_amdhsa_kernel
	.section	.text._Z35count_and_sort_expert_tokens_kernelIiEvPKT_PiS3_S3_iiii,"axG",@progbits,_Z35count_and_sort_expert_tokens_kernelIiEvPKT_PiS3_S3_iiii,comdat
.Lfunc_end2:
	.size	_Z35count_and_sort_expert_tokens_kernelIiEvPKT_PiS3_S3_iiii, .Lfunc_end2-_Z35count_and_sort_expert_tokens_kernelIiEvPKT_PiS3_S3_iiii
                                        ; -- End function
	.set _Z35count_and_sort_expert_tokens_kernelIiEvPKT_PiS3_S3_iiii.num_vgpr, 5
	.set _Z35count_and_sort_expert_tokens_kernelIiEvPKT_PiS3_S3_iiii.num_agpr, 0
	.set _Z35count_and_sort_expert_tokens_kernelIiEvPKT_PiS3_S3_iiii.numbered_sgpr, 17
	.set _Z35count_and_sort_expert_tokens_kernelIiEvPKT_PiS3_S3_iiii.num_named_barrier, 0
	.set _Z35count_and_sort_expert_tokens_kernelIiEvPKT_PiS3_S3_iiii.private_seg_size, 0
	.set _Z35count_and_sort_expert_tokens_kernelIiEvPKT_PiS3_S3_iiii.uses_vcc, 1
	.set _Z35count_and_sort_expert_tokens_kernelIiEvPKT_PiS3_S3_iiii.uses_flat_scratch, 0
	.set _Z35count_and_sort_expert_tokens_kernelIiEvPKT_PiS3_S3_iiii.has_dyn_sized_stack, 0
	.set _Z35count_and_sort_expert_tokens_kernelIiEvPKT_PiS3_S3_iiii.has_recursion, 0
	.set _Z35count_and_sort_expert_tokens_kernelIiEvPKT_PiS3_S3_iiii.has_indirect_call, 0
	.section	.AMDGPU.csdata,"",@progbits
; Kernel info:
; codeLenInByte = 372
; TotalNumSgprs: 19
; NumVgprs: 5
; ScratchSize: 0
; MemoryBound: 0
; FloatMode: 240
; IeeeMode: 1
; LDSByteSize: 0 bytes/workgroup (compile time only)
; SGPRBlocks: 0
; VGPRBlocks: 0
; NumSGPRsForWavesPerEU: 19
; NumVGPRsForWavesPerEU: 5
; NamedBarCnt: 0
; Occupancy: 16
; WaveLimiterHint : 1
; COMPUTE_PGM_RSRC2:SCRATCH_EN: 0
; COMPUTE_PGM_RSRC2:USER_SGPR: 2
; COMPUTE_PGM_RSRC2:TRAP_HANDLER: 0
; COMPUTE_PGM_RSRC2:TGID_X_EN: 1
; COMPUTE_PGM_RSRC2:TGID_Y_EN: 1
; COMPUTE_PGM_RSRC2:TGID_Z_EN: 0
; COMPUTE_PGM_RSRC2:TIDIG_COMP_CNT: 0
	.section	.AMDGPU.gpr_maximums,"",@progbits
	.set amdgpu.max_num_vgpr, 0
	.set amdgpu.max_num_agpr, 0
	.set amdgpu.max_num_sgpr, 0
	.section	.AMDGPU.csdata,"",@progbits
	.type	__hip_cuid_79bce9439ce806a2,@object ; @__hip_cuid_79bce9439ce806a2
	.section	.bss,"aw",@nobits
	.globl	__hip_cuid_79bce9439ce806a2
__hip_cuid_79bce9439ce806a2:
	.byte	0                               ; 0x0
	.size	__hip_cuid_79bce9439ce806a2, 1

	.ident	"AMD clang version 22.0.0git (https://github.com/RadeonOpenCompute/llvm-project roc-7.2.4 26084 f58b06dce1f9c15707c5f808fd002e18c2accf7e)"
	.section	".note.GNU-stack","",@progbits
	.addrsig
	.addrsig_sym shared_counts
	.addrsig_sym __hip_cuid_79bce9439ce806a2
	.amdgpu_metadata
---
amdhsa.kernels:
  - .args:
      - .actual_access:  read_only
        .address_space:  global
        .offset:         0
        .size:           8
        .value_kind:     global_buffer
      - .actual_access:  write_only
        .address_space:  global
        .offset:         8
        .size:           8
        .value_kind:     global_buffer
      - .actual_access:  write_only
        .address_space:  global
        .offset:         16
        .size:           8
        .value_kind:     global_buffer
      - .actual_access:  write_only
        .address_space:  global
        .offset:         24
        .size:           8
        .value_kind:     global_buffer
      - .actual_access:  read_only
        .address_space:  global
        .offset:         32
        .size:           8
        .value_kind:     global_buffer
      - .offset:         40
        .size:           4
        .value_kind:     by_value
      - .offset:         44
        .size:           4
        .value_kind:     by_value
      - .offset:         48
        .size:           4
        .value_kind:     by_value
      - .offset:         52
        .size:           4
        .value_kind:     by_value
      - .offset:         56
        .size:           4
        .value_kind:     by_value
      - .offset:         64
        .size:           4
        .value_kind:     hidden_block_count_x
      - .offset:         68
        .size:           4
        .value_kind:     hidden_block_count_y
      - .offset:         72
        .size:           4
        .value_kind:     hidden_block_count_z
      - .offset:         76
        .size:           2
        .value_kind:     hidden_group_size_x
      - .offset:         78
        .size:           2
        .value_kind:     hidden_group_size_y
      - .offset:         80
        .size:           2
        .value_kind:     hidden_group_size_z
      - .offset:         82
        .size:           2
        .value_kind:     hidden_remainder_x
      - .offset:         84
        .size:           2
        .value_kind:     hidden_remainder_y
      - .offset:         86
        .size:           2
        .value_kind:     hidden_remainder_z
      - .offset:         104
        .size:           8
        .value_kind:     hidden_global_offset_x
      - .offset:         112
        .size:           8
        .value_kind:     hidden_global_offset_y
      - .offset:         120
        .size:           8
        .value_kind:     hidden_global_offset_z
      - .offset:         128
        .size:           2
        .value_kind:     hidden_grid_dims
      - .offset:         184
        .size:           4
        .value_kind:     hidden_dynamic_lds_size
    .group_segment_fixed_size: 0
    .kernarg_segment_align: 8
    .kernarg_segment_size: 320
    .language:       OpenCL C
    .language_version:
      - 2
      - 0
    .max_flat_workgroup_size: 1024
    .name:           _Z46moe_align_block_size_small_batch_expert_kernelIiLi256EEvPKT_PiS3_S3_S3_iiiii
    .private_segment_fixed_size: 0
    .sgpr_count:     42
    .sgpr_spill_count: 0
    .symbol:         _Z46moe_align_block_size_small_batch_expert_kernelIiLi256EEvPKT_PiS3_S3_S3_iiiii.kd
    .uniform_work_group_size: 1
    .uses_dynamic_stack: false
    .vgpr_count:     20
    .vgpr_spill_count: 0
    .wavefront_size: 32
  - .args:
      - .actual_access:  read_only
        .address_space:  global
        .offset:         0
        .size:           8
        .value_kind:     global_buffer
      - .actual_access:  write_only
        .address_space:  global
        .offset:         8
        .size:           8
        .value_kind:     global_buffer
      - .actual_access:  write_only
        .address_space:  global
        .offset:         16
        .size:           8
        .value_kind:     global_buffer
      - .actual_access:  write_only
        .address_space:  global
        .offset:         24
        .size:           8
        .value_kind:     global_buffer
      - .actual_access:  read_only
        .address_space:  global
        .offset:         32
        .size:           8
        .value_kind:     global_buffer
      - .offset:         40
        .size:           4
        .value_kind:     by_value
      - .offset:         44
        .size:           4
        .value_kind:     by_value
      - .offset:         48
        .size:           4
        .value_kind:     by_value
      - .offset:         52
        .size:           4
        .value_kind:     by_value
      - .offset:         56
        .size:           4
        .value_kind:     by_value
      - .address_space:  global
        .offset:         64
        .size:           8
        .value_kind:     global_buffer
      - .offset:         72
        .size:           4
        .value_kind:     by_value
      - .offset:         76
        .size:           4
        .value_kind:     by_value
      - .offset:         80
        .size:           4
        .value_kind:     hidden_block_count_x
      - .offset:         84
        .size:           4
        .value_kind:     hidden_block_count_y
      - .offset:         88
        .size:           4
        .value_kind:     hidden_block_count_z
      - .offset:         92
        .size:           2
        .value_kind:     hidden_group_size_x
      - .offset:         94
        .size:           2
        .value_kind:     hidden_group_size_y
      - .offset:         96
        .size:           2
        .value_kind:     hidden_group_size_z
      - .offset:         98
        .size:           2
        .value_kind:     hidden_remainder_x
      - .offset:         100
        .size:           2
        .value_kind:     hidden_remainder_y
      - .offset:         102
        .size:           2
        .value_kind:     hidden_remainder_z
      - .offset:         120
        .size:           8
        .value_kind:     hidden_global_offset_x
      - .offset:         128
        .size:           8
        .value_kind:     hidden_global_offset_y
      - .offset:         136
        .size:           8
        .value_kind:     hidden_global_offset_z
      - .offset:         144
        .size:           2
        .value_kind:     hidden_grid_dims
      - .offset:         200
        .size:           4
        .value_kind:     hidden_dynamic_lds_size
    .group_segment_fixed_size: 4224
    .kernarg_segment_align: 8
    .kernarg_segment_size: 336
    .language:       OpenCL C
    .language_version:
      - 2
      - 0
    .max_flat_workgroup_size: 1024
    .name:           _Z27moe_align_block_size_kernelIiEvPKT_PiS3_S3_S3_iiiiiS3_ii
    .private_segment_fixed_size: 0
    .sgpr_count:     30
    .sgpr_spill_count: 0
    .symbol:         _Z27moe_align_block_size_kernelIiEvPKT_PiS3_S3_S3_iiiiiS3_ii.kd
    .uniform_work_group_size: 1
    .uses_dynamic_stack: false
    .vgpr_count:     34
    .vgpr_spill_count: 0
    .wavefront_size: 32
  - .args:
      - .actual_access:  read_only
        .address_space:  global
        .offset:         0
        .size:           8
        .value_kind:     global_buffer
      - .actual_access:  write_only
        .address_space:  global
        .offset:         8
        .size:           8
        .value_kind:     global_buffer
      - .address_space:  global
        .offset:         16
        .size:           8
        .value_kind:     global_buffer
      - .actual_access:  read_only
        .address_space:  global
        .offset:         24
        .size:           8
        .value_kind:     global_buffer
      - .offset:         32
        .size:           4
        .value_kind:     by_value
      - .offset:         36
        .size:           4
        .value_kind:     by_value
      - .offset:         40
        .size:           4
        .value_kind:     by_value
      - .offset:         44
        .size:           4
        .value_kind:     by_value
      - .offset:         48
        .size:           4
        .value_kind:     hidden_block_count_x
      - .offset:         52
        .size:           4
        .value_kind:     hidden_block_count_y
      - .offset:         56
        .size:           4
        .value_kind:     hidden_block_count_z
      - .offset:         60
        .size:           2
        .value_kind:     hidden_group_size_x
      - .offset:         62
        .size:           2
        .value_kind:     hidden_group_size_y
      - .offset:         64
        .size:           2
        .value_kind:     hidden_group_size_z
      - .offset:         66
        .size:           2
        .value_kind:     hidden_remainder_x
      - .offset:         68
        .size:           2
        .value_kind:     hidden_remainder_y
      - .offset:         70
        .size:           2
        .value_kind:     hidden_remainder_z
      - .offset:         88
        .size:           8
        .value_kind:     hidden_global_offset_x
      - .offset:         96
        .size:           8
        .value_kind:     hidden_global_offset_y
      - .offset:         104
        .size:           8
        .value_kind:     hidden_global_offset_z
      - .offset:         112
        .size:           2
        .value_kind:     hidden_grid_dims
    .group_segment_fixed_size: 0
    .kernarg_segment_align: 8
    .kernarg_segment_size: 304
    .language:       OpenCL C
    .language_version:
      - 2
      - 0
    .max_flat_workgroup_size: 1024
    .name:           _Z35count_and_sort_expert_tokens_kernelIiEvPKT_PiS3_S3_iiii
    .private_segment_fixed_size: 0
    .sgpr_count:     19
    .sgpr_spill_count: 0
    .symbol:         _Z35count_and_sort_expert_tokens_kernelIiEvPKT_PiS3_S3_iiii.kd
    .uniform_work_group_size: 1
    .uses_dynamic_stack: false
    .vgpr_count:     5
    .vgpr_spill_count: 0
    .wavefront_size: 32
amdhsa.target:   amdgcn-amd-amdhsa--gfx1250
amdhsa.version:
  - 1
  - 2
...

	.end_amdgpu_metadata
